;; amdgpu-corpus repo=ggml-org/llama.cpp kind=compiled arch=gfx90a opt=O3
	.text
	.amdgcn_target "amdgcn-amd-amdhsa--gfx90a"
	.amdhsa_code_object_version 6
	.section	.text._Z13topk_moe_cudaILi1ELb1EEvPKfPfPiS2_iiff15topk_moe_config,"axG",@progbits,_Z13topk_moe_cudaILi1ELb1EEvPKfPfPiS2_iiff15topk_moe_config,comdat
	.protected	_Z13topk_moe_cudaILi1ELb1EEvPKfPfPiS2_iiff15topk_moe_config ; -- Begin function _Z13topk_moe_cudaILi1ELb1EEvPKfPfPiS2_iiff15topk_moe_config
	.globl	_Z13topk_moe_cudaILi1ELb1EEvPKfPfPiS2_iiff15topk_moe_config
	.p2align	8
	.type	_Z13topk_moe_cudaILi1ELb1EEvPKfPfPiS2_iiff15topk_moe_config,@function
_Z13topk_moe_cudaILi1ELb1EEvPKfPfPiS2_iiff15topk_moe_config: ; @_Z13topk_moe_cudaILi1ELb1EEvPKfPfPiS2_iiff15topk_moe_config
; %bb.0:
	s_load_dword s0, s[4:5], 0x44
	s_load_dwordx4 s[12:15], s[4:5], 0x20
	v_bfe_u32 v1, v0, 10, 10
	s_waitcnt lgkmcnt(0)
	s_lshr_b32 s0, s0, 16
	s_mul_i32 s6, s6, s0
	v_add_u32_e32 v2, s6, v1
	v_cmp_gt_i32_e32 vcc, s12, v2
	s_and_saveexec_b64 s[0:1], vcc
	s_cbranch_execz .LBB0_37
; %bb.1:
	v_mov_b32_e32 v1, 0
	global_load_ushort v4, v1, s[4:5] offset:48
	global_load_ubyte v5, v1, s[4:5] offset:50
	v_mov_b32_e32 v1, 8
	s_load_dwordx8 s[4:11], s[4:5], 0x0
	v_ashrrev_i32_e32 v3, 31, v2
	v_and_b32_e32 v11, 0x3ff, v0
	v_mov_b32_e32 v0, 0xff800000
	v_cmp_eq_u32_e64 s[0:1], 0, v11
	s_waitcnt vmcnt(1)
	v_lshrrev_b32_sdwa v1, v1, v4 dst_sel:BYTE_1 dst_unused:UNUSED_PAD src0_sel:DWORD src1_sel:DWORD
	v_or_b32_sdwa v1, v4, v1 dst_sel:DWORD dst_unused:UNUSED_PAD src0_sel:BYTE_0 src1_sel:DWORD
	s_waitcnt vmcnt(0)
	v_readfirstlane_b32 s2, v5
	v_readfirstlane_b32 s3, v1
	s_lshl_b32 s2, s2, 16
	s_and_b32 s3, 0xffff, s3
	s_or_b32 s12, s3, s2
	v_lshlrev_b64 v[4:5], 2, v[2:3]
	s_and_saveexec_b64 s[2:3], s[0:1]
	s_cbranch_execz .LBB0_3
; %bb.2:
	s_waitcnt lgkmcnt(0)
	v_mov_b32_e32 v1, s5
	v_add_co_u32_e32 v0, vcc, s4, v4
	v_addc_co_u32_e32 v1, vcc, v1, v5, vcc
	global_load_dword v0, v[0:1], off
.LBB0_3:
	s_or_b64 exec, exec, s[2:3]
	s_bitcmp1_b32 s12, 16
	s_waitcnt lgkmcnt(0)
	s_cselect_b64 s[4:5], -1, 0
	s_and_b64 vcc, exec, s[4:5]
	s_cbranch_vccnz .LBB0_9
; %bb.4:
	s_bitcmp0_b32 s12, 0
	s_cbranch_scc0 .LBB0_6
; %bb.5:
	v_mbcnt_lo_u32_b32 v3, -1, 0
	v_mbcnt_hi_u32_b32 v3, -1, v3
	v_and_b32_e32 v6, 0x60, v3
	v_add_u32_e32 v6, 32, v6
	v_xor_b32_e32 v7, 16, v3
	v_cmp_lt_i32_e32 vcc, v7, v6
	s_waitcnt vmcnt(0)
	v_max_f32_e32 v1, v0, v0
	v_cndmask_b32_e32 v7, v3, v7, vcc
	v_max_f32_e32 v1, 0xff800000, v1
	v_lshlrev_b32_e32 v7, 2, v7
	ds_bpermute_b32 v8, v7, v1
	s_mov_b32 s2, 0x3fb8aa3b
	s_waitcnt lgkmcnt(0)
	v_max_f32_e32 v8, v8, v8
	v_max_f32_e32 v1, v1, v8
	v_xor_b32_e32 v8, 8, v3
	v_cmp_lt_i32_e32 vcc, v8, v6
	v_cndmask_b32_e32 v8, v3, v8, vcc
	v_lshlrev_b32_e32 v8, 2, v8
	ds_bpermute_b32 v9, v8, v1
	s_waitcnt lgkmcnt(0)
	v_max_f32_e32 v9, v9, v9
	v_max_f32_e32 v1, v1, v9
	v_xor_b32_e32 v9, 4, v3
	v_cmp_lt_i32_e32 vcc, v9, v6
	v_cndmask_b32_e32 v9, v3, v9, vcc
	v_lshlrev_b32_e32 v9, 2, v9
	ds_bpermute_b32 v10, v9, v1
	;; [unrolled: 8-line block ×4, first 2 shown]
	s_waitcnt lgkmcnt(0)
	v_max_f32_e32 v6, v6, v6
	v_max_f32_e32 v1, v1, v6
	v_sub_f32_e32 v1, v0, v1
	v_mul_f32_e32 v6, 0x3fb8aa3b, v1
	v_fma_f32 v12, v1, s2, -v6
	v_rndne_f32_e32 v13, v6
	v_fmac_f32_e32 v12, 0x32a5705f, v1
	v_sub_f32_e32 v6, v6, v13
	v_add_f32_e32 v6, v6, v12
	v_exp_f32_e32 v6, v6
	v_cvt_i32_f32_e32 v12, v13
	s_mov_b32 s2, 0xc2ce8ed0
	v_cmp_ngt_f32_e32 vcc, s2, v1
	s_mov_b32 s2, 0x42b17218
	v_ldexp_f32 v6, v6, v12
	v_cndmask_b32_e32 v6, 0, v6, vcc
	v_mov_b32_e32 v12, 0x7f800000
	v_cmp_nlt_f32_e32 vcc, s2, v1
	v_cndmask_b32_e32 v1, v12, v6, vcc
	ds_bpermute_b32 v6, v7, v1
	s_waitcnt lgkmcnt(0)
	v_add_f32_e32 v6, v1, v6
	ds_bpermute_b32 v7, v8, v6
	s_waitcnt lgkmcnt(0)
	v_add_f32_e32 v6, v6, v7
	;; [unrolled: 3-line block ×5, first 2 shown]
	v_div_scale_f32 v6, s[2:3], v3, v3, 1.0
	v_rcp_f32_e32 v7, v6
	v_div_scale_f32 v8, vcc, 1.0, v3, 1.0
	v_fma_f32 v9, -v6, v7, 1.0
	v_fmac_f32_e32 v7, v9, v7
	v_mul_f32_e32 v9, v8, v7
	v_fma_f32 v10, -v6, v9, v8
	v_fmac_f32_e32 v9, v10, v7
	v_fma_f32 v6, -v6, v9, v8
	v_div_fmas_f32 v6, v6, v7, v9
	v_div_fixup_f32 v3, v6, v3, 1.0
	v_mul_f32_e32 v1, v1, v3
	s_cbranch_execz .LBB0_7
	s_branch .LBB0_8
.LBB0_6:
                                        ; implicit-def: $vgpr1
.LBB0_7:
	s_waitcnt vmcnt(0)
	v_mul_f32_e32 v1, 0xbfb8aa3b, v0
	s_mov_b32 s2, 0xbfb8aa3b
	v_rndne_f32_e32 v3, v1
	v_sub_f32_e32 v6, v1, v3
	v_fma_f32 v1, v0, s2, -v1
	v_fmac_f32_e32 v1, 0xb2a5705f, v0
	v_add_f32_e32 v1, v6, v1
	v_exp_f32_e32 v1, v1
	v_cvt_i32_f32_e32 v3, v3
	s_mov_b32 s2, 0x42ce8ed0
	v_cmp_nlt_f32_e32 vcc, s2, v0
	s_mov_b32 s2, 0xc2b17218
	v_ldexp_f32 v1, v1, v3
	v_cndmask_b32_e32 v1, 0, v1, vcc
	v_mov_b32_e32 v3, 0x7f800000
	v_cmp_ngt_f32_e32 vcc, s2, v0
	v_cndmask_b32_e32 v0, v3, v1, vcc
	v_add_f32_e32 v0, 1.0, v0
	v_div_scale_f32 v1, s[2:3], v0, v0, 1.0
	v_rcp_f32_e32 v3, v1
	v_fma_f32 v6, -v1, v3, 1.0
	v_fmac_f32_e32 v3, v6, v3
	v_div_scale_f32 v6, vcc, 1.0, v0, 1.0
	v_mul_f32_e32 v7, v6, v3
	v_fma_f32 v8, -v1, v7, v6
	v_fmac_f32_e32 v7, v8, v3
	v_fma_f32 v1, -v1, v7, v6
	v_div_fmas_f32 v1, v1, v3, v7
	v_div_fixup_f32 v1, v1, v0, 1.0
.LBB0_8:
	s_waitcnt vmcnt(0)
	v_mov_b32_e32 v0, v1
.LBB0_9:
	v_mov_b32_e32 v1, 0xff7fffff
	s_waitcnt vmcnt(0)
	v_cmp_o_f32_e32 vcc, v0, v0
	v_cndmask_b32_e32 v0, v1, v0, vcc
	v_mov_b32_e32 v1, 0xff800000
	s_and_saveexec_b64 s[2:3], s[0:1]
	s_cbranch_execz .LBB0_11
; %bb.10:
	s_load_dword s0, s[10:11], 0x0
	s_waitcnt lgkmcnt(0)
	v_add_f32_e32 v1, s0, v0
.LBB0_11:
	s_or_b64 exec, exec, s[2:3]
	s_lshr_b32 s2, s12, 8
	s_cmp_gt_i32 s13, 0
	s_mov_b32 s3, 0
	s_cbranch_scc1 .LBB0_13
; %bb.12:
	s_bitcmp1_b32 s2, 0
	s_mov_b64 s[0:1], 0
	s_cselect_b64 s[10:11], -1, 0
	s_branch .LBB0_14
.LBB0_13:
	s_mov_b64 s[0:1], -1
                                        ; implicit-def: $sgpr3
                                        ; implicit-def: $sgpr10_sgpr11
.LBB0_14:
	s_andn2_b64 vcc, exec, s[0:1]
	v_mov_b32_e32 v13, s3
	v_mbcnt_lo_u32_b32 v12, -1, 0
	v_mov_b32_e32 v3, s3
	s_cbranch_vccnz .LBB0_33
; %bb.15:
	v_mov_b32_e32 v3, s9
	v_add_co_u32_e32 v4, vcc, s8, v4
	v_addc_co_u32_e32 v5, vcc, v3, v5, vcc
	v_mbcnt_hi_u32_b32 v3, -1, v12
	v_and_b32_e32 v6, 0x60, v3
	v_add_u32_e32 v6, 32, v6
	v_xor_b32_e32 v7, 16, v3
	v_cmp_lt_i32_e32 vcc, v7, v6
	v_cndmask_b32_e32 v7, v3, v7, vcc
	v_lshlrev_b32_e32 v14, 2, v7
	v_xor_b32_e32 v7, 8, v3
	v_cmp_lt_i32_e32 vcc, v7, v6
	v_cndmask_b32_e32 v7, v3, v7, vcc
	v_lshlrev_b32_e32 v15, 2, v7
	;; [unrolled: 4-line block ×4, first 2 shown]
	v_xor_b32_e32 v7, 1, v3
	v_cmp_lt_i32_e32 vcc, v7, v6
	s_bitcmp1_b32 s2, 0
	v_cndmask_b32_e32 v3, v3, v7, vcc
	s_mov_b32 s12, 0
	s_cselect_b64 s[10:11], -1, 0
	v_lshlrev_b32_e32 v18, 2, v3
	v_mov_b32_e32 v13, 0
	v_mov_b32_e32 v19, 0xff800000
	;; [unrolled: 1-line block ×3, first 2 shown]
	s_branch .LBB0_17
.LBB0_16:                               ;   in Loop: Header=BB0_17 Depth=1
	s_or_b64 exec, exec, s[0:1]
	s_and_b32 s0, s12, 31
	v_cndmask_b32_e32 v1, v1, v19, vcc
	v_cmp_eq_u32_e32 vcc, s0, v11
	v_cndmask_b32_e32 v3, v3, v6, vcc
	s_add_i32 s12, s12, 1
	v_add_co_u32_e32 v4, vcc, 4, v4
	s_cmp_eq_u32 s13, s12
	v_addc_co_u32_e32 v5, vcc, 0, v5, vcc
	s_cbranch_scc1 .LBB0_33
.LBB0_17:                               ; =>This Inner Loop Header: Depth=1
	ds_bpermute_b32 v9, v14, v1
	ds_bpermute_b32 v10, v14, v11
	;; [unrolled: 1-line block ×3, first 2 shown]
	v_mov_b32_e32 v20, v1
	v_mov_b32_e32 v22, v0
	s_waitcnt lgkmcnt(2)
	v_cmp_eq_f32_e64 s[0:1], v1, v9
	s_waitcnt lgkmcnt(1)
	v_cmp_lt_i32_e64 s[2:3], v10, v11
	v_cmp_lt_f32_e32 vcc, v1, v9
	s_and_b64 s[0:1], s[0:1], s[2:3]
	s_or_b64 s[2:3], vcc, s[0:1]
	v_mov_b32_e32 v21, v11
	v_pk_mov_b32 v[6:7], v[0:1], v[0:1] op_sel:[0,1]
	s_and_saveexec_b64 s[0:1], s[2:3]
	s_cbranch_execz .LBB0_19
; %bb.18:                               ;   in Loop: Header=BB0_17 Depth=1
	v_mov_b32_e32 v20, v9
	s_waitcnt lgkmcnt(0)
	v_mov_b32_e32 v22, v8
	v_mov_b32_e32 v21, v10
	v_pk_mov_b32 v[6:7], v[8:9], v[8:9] op_sel:[0,1]
.LBB0_19:                               ;   in Loop: Header=BB0_17 Depth=1
	s_or_b64 exec, exec, s[0:1]
	ds_bpermute_b32 v24, v15, v20
	ds_bpermute_b32 v10, v15, v22
	ds_bpermute_b32 v23, v15, v21
	s_waitcnt lgkmcnt(2)
	v_cmp_lt_f32_e64 s[2:3], v7, v24
	v_cmp_nlt_f32_e32 vcc, v7, v24
	s_and_saveexec_b64 s[8:9], vcc
	s_cbranch_execz .LBB0_21
; %bb.20:                               ;   in Loop: Header=BB0_17 Depth=1
	v_cmp_eq_f32_e32 vcc, v7, v24
	s_waitcnt lgkmcnt(0)
	v_cmp_lt_i32_e64 s[0:1], v23, v21
	s_and_b64 s[0:1], vcc, s[0:1]
	s_andn2_b64 s[2:3], s[2:3], exec
	s_and_b64 s[0:1], s[0:1], exec
	s_or_b64 s[2:3], s[2:3], s[0:1]
.LBB0_21:                               ;   in Loop: Header=BB0_17 Depth=1
	s_or_b64 exec, exec, s[8:9]
	v_pk_mov_b32 v[8:9], v[6:7], v[6:7] op_sel:[0,1]
	s_and_saveexec_b64 s[0:1], s[2:3]
	s_cbranch_execz .LBB0_23
; %bb.22:                               ;   in Loop: Header=BB0_17 Depth=1
	v_mov_b32_e32 v7, v24
	v_mov_b32_e32 v20, v24
	s_waitcnt lgkmcnt(1)
	v_mov_b32_e32 v22, v10
	s_waitcnt lgkmcnt(0)
	v_mov_b32_e32 v21, v23
	v_pk_mov_b32 v[8:9], v[10:11], v[10:11] op_sel:[0,1]
.LBB0_23:                               ;   in Loop: Header=BB0_17 Depth=1
	s_or_b64 exec, exec, s[0:1]
	s_waitcnt lgkmcnt(1)
	ds_bpermute_b32 v10, v16, v20
	ds_bpermute_b32 v6, v16, v22
	;; [unrolled: 1-line block ×3, first 2 shown]
	s_waitcnt lgkmcnt(2)
	v_cmp_lt_f32_e64 s[2:3], v7, v10
	v_cmp_nlt_f32_e32 vcc, v7, v10
	s_and_saveexec_b64 s[8:9], vcc
	s_cbranch_execz .LBB0_25
; %bb.24:                               ;   in Loop: Header=BB0_17 Depth=1
	v_cmp_eq_f32_e32 vcc, v7, v10
	s_waitcnt lgkmcnt(0)
	v_cmp_lt_i32_e64 s[0:1], v9, v21
	s_and_b64 s[0:1], vcc, s[0:1]
	s_andn2_b64 s[2:3], s[2:3], exec
	s_and_b64 s[0:1], s[0:1], exec
	s_or_b64 s[2:3], s[2:3], s[0:1]
.LBB0_25:                               ;   in Loop: Header=BB0_17 Depth=1
	s_or_b64 exec, exec, s[8:9]
	s_and_saveexec_b64 s[0:1], s[2:3]
	s_cbranch_execz .LBB0_27
; %bb.26:                               ;   in Loop: Header=BB0_17 Depth=1
	v_mov_b32_e32 v7, v10
	v_mov_b32_e32 v20, v10
	s_waitcnt lgkmcnt(1)
	v_mov_b32_e32 v22, v6
	s_waitcnt lgkmcnt(0)
	v_mov_b32_e32 v21, v9
	v_pk_mov_b32 v[8:9], v[6:7], v[6:7] op_sel:[0,1]
.LBB0_27:                               ;   in Loop: Header=BB0_17 Depth=1
	s_or_b64 exec, exec, s[0:1]
	ds_bpermute_b32 v10, v17, v20
	s_waitcnt lgkmcnt(2)
	ds_bpermute_b32 v6, v17, v22
	s_waitcnt lgkmcnt(2)
	;; [unrolled: 2-line block ×3, first 2 shown]
	v_cmp_lt_f32_e64 s[2:3], v7, v10
	v_cmp_nlt_f32_e32 vcc, v7, v10
	s_and_saveexec_b64 s[8:9], vcc
	s_cbranch_execz .LBB0_29
; %bb.28:                               ;   in Loop: Header=BB0_17 Depth=1
	v_cmp_eq_f32_e32 vcc, v7, v10
	s_waitcnt lgkmcnt(0)
	v_cmp_lt_i32_e64 s[0:1], v9, v21
	s_and_b64 s[0:1], vcc, s[0:1]
	s_andn2_b64 s[2:3], s[2:3], exec
	s_and_b64 s[0:1], s[0:1], exec
	s_or_b64 s[2:3], s[2:3], s[0:1]
.LBB0_29:                               ;   in Loop: Header=BB0_17 Depth=1
	s_or_b64 exec, exec, s[8:9]
	s_and_saveexec_b64 s[0:1], s[2:3]
	s_cbranch_execz .LBB0_31
; %bb.30:                               ;   in Loop: Header=BB0_17 Depth=1
	v_mov_b32_e32 v7, v10
	v_mov_b32_e32 v20, v10
	s_waitcnt lgkmcnt(1)
	v_mov_b32_e32 v22, v6
	s_waitcnt lgkmcnt(0)
	v_mov_b32_e32 v21, v9
	v_pk_mov_b32 v[8:9], v[6:7], v[6:7] op_sel:[0,1]
.LBB0_31:                               ;   in Loop: Header=BB0_17 Depth=1
	s_or_b64 exec, exec, s[0:1]
	s_waitcnt lgkmcnt(1)
	ds_bpermute_b32 v6, v18, v20
	s_waitcnt lgkmcnt(1)
	ds_bpermute_b32 v9, v18, v21
	ds_bpermute_b32 v10, v18, v22
	s_waitcnt lgkmcnt(2)
	v_cmp_eq_f32_e64 s[0:1], v7, v6
	s_waitcnt lgkmcnt(1)
	v_cmp_lt_i32_e64 s[2:3], v9, v21
	v_cmp_lt_f32_e32 vcc, v7, v6
	s_and_b64 s[0:1], s[0:1], s[2:3]
	s_or_b64 vcc, vcc, s[0:1]
	v_cndmask_b32_e32 v7, v21, v9, vcc
	s_waitcnt lgkmcnt(0)
	v_cndmask_b32_e32 v6, v8, v10, vcc
	v_and_b32_e32 v8, 31, v7
	v_cmp_eq_u32_e32 vcc, v8, v11
	s_and_saveexec_b64 s[0:1], vcc
	s_cbranch_execz .LBB0_16
; %bb.32:                               ;   in Loop: Header=BB0_17 Depth=1
	v_add_f32_e32 v8, v13, v6
	v_cndmask_b32_e64 v13, v13, v8, s[10:11]
	global_store_dword v[4:5], v7, off
	s_branch .LBB0_16
.LBB0_33:
	s_and_b64 vcc, exec, s[10:11]
	s_cbranch_vccnz .LBB0_38
; %bb.34:
	s_andn2_b64 vcc, exec, s[4:5]
	v_cmp_gt_i32_e64 s[0:1], s13, v11
	s_cbranch_vccz .LBB0_39
.LBB0_35:
	v_cmp_gt_i32_e32 vcc, s13, v11
	s_and_b64 exec, exec, vcc
	s_cbranch_execz .LBB0_37
.LBB0_36:
	v_mul_lo_u32 v0, v2, s13
	v_ashrrev_i32_e32 v1, 31, v0
	v_lshlrev_b64 v[0:1], 2, v[0:1]
	v_mov_b32_e32 v2, s7
	v_add_co_u32_e32 v0, vcc, s6, v0
	v_addc_co_u32_e32 v1, vcc, v2, v1, vcc
	v_lshlrev_b32_e32 v2, 2, v11
	v_add_co_u32_e32 v0, vcc, v0, v2
	v_addc_co_u32_e32 v1, vcc, 0, v1, vcc
	v_mul_f32_e32 v2, s15, v3
	global_store_dword v[0:1], v2, off
.LBB0_37:
	s_endpgm
.LBB0_38:
	v_mbcnt_hi_u32_b32 v0, -1, v12
	v_and_b32_e32 v1, 0x60, v0
	v_add_u32_e32 v1, 32, v1
	v_xor_b32_e32 v4, 16, v0
	v_cmp_lt_i32_e32 vcc, v4, v1
	v_cndmask_b32_e32 v4, v0, v4, vcc
	v_lshlrev_b32_e32 v4, 2, v4
	ds_bpermute_b32 v4, v4, v13
	v_xor_b32_e32 v5, 8, v0
	v_cmp_lt_i32_e32 vcc, v5, v1
	v_cndmask_b32_e32 v5, v0, v5, vcc
	v_lshlrev_b32_e32 v5, 2, v5
	s_waitcnt lgkmcnt(0)
	v_add_f32_e32 v4, v13, v4
	ds_bpermute_b32 v5, v5, v4
	v_xor_b32_e32 v6, 4, v0
	v_cmp_lt_i32_e32 vcc, v6, v1
	s_waitcnt lgkmcnt(0)
	v_add_f32_e32 v4, v4, v5
	v_cndmask_b32_e32 v5, v0, v6, vcc
	v_lshlrev_b32_e32 v5, 2, v5
	ds_bpermute_b32 v5, v5, v4
	v_xor_b32_e32 v6, 2, v0
	v_cmp_lt_i32_e32 vcc, v6, v1
	s_waitcnt lgkmcnt(0)
	v_add_f32_e32 v4, v4, v5
	v_cndmask_b32_e32 v5, v0, v6, vcc
	v_lshlrev_b32_e32 v5, 2, v5
	ds_bpermute_b32 v5, v5, v4
	v_xor_b32_e32 v6, 1, v0
	v_cmp_lt_i32_e32 vcc, v6, v1
	v_cndmask_b32_e32 v0, v0, v6, vcc
	v_lshlrev_b32_e32 v0, 2, v0
	s_waitcnt lgkmcnt(0)
	v_add_f32_e32 v4, v4, v5
	ds_bpermute_b32 v0, v0, v4
	v_max_f32_e64 v1, s14, s14
	s_waitcnt lgkmcnt(0)
	v_add_f32_e32 v0, v4, v0
	v_max_f32_e32 v0, v0, v1
	v_div_scale_f32 v1, s[0:1], v0, v0, 1.0
	v_rcp_f32_e32 v4, v1
	v_div_scale_f32 v5, vcc, 1.0, v0, 1.0
	v_fma_f32 v6, -v1, v4, 1.0
	v_fmac_f32_e32 v4, v6, v4
	v_mul_f32_e32 v6, v5, v4
	v_fma_f32 v7, -v1, v6, v5
	v_fmac_f32_e32 v6, v7, v4
	v_fma_f32 v1, -v1, v6, v5
	v_div_fmas_f32 v1, v1, v4, v6
	v_div_fixup_f32 v0, v1, v0, 1.0
	v_mul_f32_e32 v3, v3, v0
	s_andn2_b64 vcc, exec, s[4:5]
	v_cmp_gt_i32_e64 s[0:1], s13, v11
	s_cbranch_vccnz .LBB0_35
.LBB0_39:
	v_max_f32_e32 v0, v3, v3
	v_max_f32_e32 v0, 0xff800000, v0
	v_mov_b32_e32 v1, 0xff800000
	v_cndmask_b32_e64 v0, v1, v0, s[0:1]
	v_mbcnt_hi_u32_b32 v1, -1, v12
	v_and_b32_e32 v4, 0x60, v1
	v_add_u32_e32 v4, 32, v4
	v_xor_b32_e32 v5, 16, v1
	v_cmp_lt_i32_e32 vcc, v5, v4
	v_cndmask_b32_e32 v5, v1, v5, vcc
	v_lshlrev_b32_e32 v5, 2, v5
	ds_bpermute_b32 v6, v5, v0
	s_mov_b32 s2, 0x3fb8aa3b
	s_waitcnt lgkmcnt(0)
	v_max_f32_e32 v6, v6, v6
	v_max_f32_e32 v0, v0, v6
	v_xor_b32_e32 v6, 8, v1
	v_cmp_lt_i32_e32 vcc, v6, v4
	v_cndmask_b32_e32 v6, v1, v6, vcc
	v_lshlrev_b32_e32 v6, 2, v6
	ds_bpermute_b32 v7, v6, v0
	s_waitcnt lgkmcnt(0)
	v_max_f32_e32 v7, v7, v7
	v_max_f32_e32 v0, v0, v7
	v_xor_b32_e32 v7, 4, v1
	v_cmp_lt_i32_e32 vcc, v7, v4
	v_cndmask_b32_e32 v7, v1, v7, vcc
	v_lshlrev_b32_e32 v7, 2, v7
	ds_bpermute_b32 v8, v7, v0
	;; [unrolled: 8-line block ×4, first 2 shown]
	s_waitcnt lgkmcnt(0)
	v_max_f32_e32 v1, v1, v1
	v_max_f32_e32 v0, v0, v1
	v_sub_f32_e32 v0, v3, v0
	v_mul_f32_e32 v1, 0x3fb8aa3b, v0
	v_fma_f32 v3, v0, s2, -v1
	v_rndne_f32_e32 v9, v1
	v_fmac_f32_e32 v3, 0x32a5705f, v0
	v_sub_f32_e32 v1, v1, v9
	v_add_f32_e32 v1, v1, v3
	v_exp_f32_e32 v1, v1
	v_cvt_i32_f32_e32 v3, v9
	s_mov_b32 s2, 0xc2ce8ed0
	v_cmp_ngt_f32_e32 vcc, s2, v0
	s_mov_b32 s2, 0x42b17218
	v_ldexp_f32 v1, v1, v3
	v_cndmask_b32_e32 v1, 0, v1, vcc
	v_mov_b32_e32 v3, 0x7f800000
	v_cmp_nlt_f32_e32 vcc, s2, v0
	v_cndmask_b32_e32 v0, v3, v1, vcc
	v_cndmask_b32_e64 v1, 0, v0, s[0:1]
	ds_bpermute_b32 v3, v5, v1
	s_waitcnt lgkmcnt(0)
	v_add_f32_e32 v1, v1, v3
	ds_bpermute_b32 v3, v6, v1
	s_waitcnt lgkmcnt(0)
	v_add_f32_e32 v1, v1, v3
	;; [unrolled: 3-line block ×4, first 2 shown]
	ds_bpermute_b32 v4, v4, v1
	v_mov_b32_e32 v3, 0
	s_and_saveexec_b64 s[2:3], s[0:1]
	s_cbranch_execz .LBB0_41
; %bb.40:
	s_waitcnt lgkmcnt(0)
	v_add_f32_e32 v1, v1, v4
	v_div_scale_f32 v3, s[0:1], v1, v1, 1.0
	v_rcp_f32_e32 v4, v3
	v_div_scale_f32 v5, vcc, 1.0, v1, 1.0
	v_fma_f32 v6, -v3, v4, 1.0
	v_fmac_f32_e32 v4, v6, v4
	v_mul_f32_e32 v6, v5, v4
	v_fma_f32 v7, -v3, v6, v5
	v_fmac_f32_e32 v6, v7, v4
	v_fma_f32 v3, -v3, v6, v5
	v_div_fmas_f32 v3, v3, v4, v6
	v_div_fixup_f32 v1, v3, v1, 1.0
	v_mul_f32_e32 v3, v0, v1
.LBB0_41:
	s_or_b64 exec, exec, s[2:3]
	v_cmp_gt_i32_e32 vcc, s13, v11
	s_and_b64 exec, exec, vcc
	s_cbranch_execnz .LBB0_36
	s_branch .LBB0_37
	.section	.rodata,"a",@progbits
	.p2align	6, 0x0
	.amdhsa_kernel _Z13topk_moe_cudaILi1ELb1EEvPKfPfPiS2_iiff15topk_moe_config
		.amdhsa_group_segment_fixed_size 0
		.amdhsa_private_segment_fixed_size 0
		.amdhsa_kernarg_size 312
		.amdhsa_user_sgpr_count 6
		.amdhsa_user_sgpr_private_segment_buffer 1
		.amdhsa_user_sgpr_dispatch_ptr 0
		.amdhsa_user_sgpr_queue_ptr 0
		.amdhsa_user_sgpr_kernarg_segment_ptr 1
		.amdhsa_user_sgpr_dispatch_id 0
		.amdhsa_user_sgpr_flat_scratch_init 0
		.amdhsa_user_sgpr_kernarg_preload_length 0
		.amdhsa_user_sgpr_kernarg_preload_offset 0
		.amdhsa_user_sgpr_private_segment_size 0
		.amdhsa_uses_dynamic_stack 0
		.amdhsa_system_sgpr_private_segment_wavefront_offset 0
		.amdhsa_system_sgpr_workgroup_id_x 1
		.amdhsa_system_sgpr_workgroup_id_y 0
		.amdhsa_system_sgpr_workgroup_id_z 0
		.amdhsa_system_sgpr_workgroup_info 0
		.amdhsa_system_vgpr_workitem_id 1
		.amdhsa_next_free_vgpr 25
		.amdhsa_next_free_sgpr 16
		.amdhsa_accum_offset 28
		.amdhsa_reserve_vcc 1
		.amdhsa_reserve_flat_scratch 0
		.amdhsa_float_round_mode_32 0
		.amdhsa_float_round_mode_16_64 0
		.amdhsa_float_denorm_mode_32 3
		.amdhsa_float_denorm_mode_16_64 3
		.amdhsa_dx10_clamp 1
		.amdhsa_ieee_mode 1
		.amdhsa_fp16_overflow 0
		.amdhsa_tg_split 0
		.amdhsa_exception_fp_ieee_invalid_op 0
		.amdhsa_exception_fp_denorm_src 0
		.amdhsa_exception_fp_ieee_div_zero 0
		.amdhsa_exception_fp_ieee_overflow 0
		.amdhsa_exception_fp_ieee_underflow 0
		.amdhsa_exception_fp_ieee_inexact 0
		.amdhsa_exception_int_div_zero 0
	.end_amdhsa_kernel
	.section	.text._Z13topk_moe_cudaILi1ELb1EEvPKfPfPiS2_iiff15topk_moe_config,"axG",@progbits,_Z13topk_moe_cudaILi1ELb1EEvPKfPfPiS2_iiff15topk_moe_config,comdat
.Lfunc_end0:
	.size	_Z13topk_moe_cudaILi1ELb1EEvPKfPfPiS2_iiff15topk_moe_config, .Lfunc_end0-_Z13topk_moe_cudaILi1ELb1EEvPKfPfPiS2_iiff15topk_moe_config
                                        ; -- End function
	.section	.AMDGPU.csdata,"",@progbits
; Kernel info:
; codeLenInByte = 2760
; NumSgprs: 20
; NumVgprs: 25
; NumAgprs: 0
; TotalNumVgprs: 25
; ScratchSize: 0
; MemoryBound: 0
; FloatMode: 240
; IeeeMode: 1
; LDSByteSize: 0 bytes/workgroup (compile time only)
; SGPRBlocks: 2
; VGPRBlocks: 3
; NumSGPRsForWavesPerEU: 20
; NumVGPRsForWavesPerEU: 25
; AccumOffset: 28
; Occupancy: 8
; WaveLimiterHint : 0
; COMPUTE_PGM_RSRC2:SCRATCH_EN: 0
; COMPUTE_PGM_RSRC2:USER_SGPR: 6
; COMPUTE_PGM_RSRC2:TRAP_HANDLER: 0
; COMPUTE_PGM_RSRC2:TGID_X_EN: 1
; COMPUTE_PGM_RSRC2:TGID_Y_EN: 0
; COMPUTE_PGM_RSRC2:TGID_Z_EN: 0
; COMPUTE_PGM_RSRC2:TIDIG_COMP_CNT: 1
; COMPUTE_PGM_RSRC3_GFX90A:ACCUM_OFFSET: 6
; COMPUTE_PGM_RSRC3_GFX90A:TG_SPLIT: 0
	.section	.text._Z13topk_moe_cudaILi2ELb1EEvPKfPfPiS2_iiff15topk_moe_config,"axG",@progbits,_Z13topk_moe_cudaILi2ELb1EEvPKfPfPiS2_iiff15topk_moe_config,comdat
	.protected	_Z13topk_moe_cudaILi2ELb1EEvPKfPfPiS2_iiff15topk_moe_config ; -- Begin function _Z13topk_moe_cudaILi2ELb1EEvPKfPfPiS2_iiff15topk_moe_config
	.globl	_Z13topk_moe_cudaILi2ELb1EEvPKfPfPiS2_iiff15topk_moe_config
	.p2align	8
	.type	_Z13topk_moe_cudaILi2ELb1EEvPKfPfPiS2_iiff15topk_moe_config,@function
_Z13topk_moe_cudaILi2ELb1EEvPKfPfPiS2_iiff15topk_moe_config: ; @_Z13topk_moe_cudaILi2ELb1EEvPKfPfPiS2_iiff15topk_moe_config
; %bb.0:
	s_load_dword s0, s[4:5], 0x44
	s_load_dwordx4 s[12:15], s[4:5], 0x20
	v_bfe_u32 v1, v0, 10, 10
	s_waitcnt lgkmcnt(0)
	s_lshr_b32 s0, s0, 16
	s_mul_i32 s6, s6, s0
	v_add_u32_e32 v9, s6, v1
	v_cmp_gt_i32_e32 vcc, s12, v9
	s_and_saveexec_b64 s[0:1], vcc
	s_cbranch_execz .LBB1_37
; %bb.1:
	v_mov_b32_e32 v1, 0
	global_load_ushort v4, v1, s[4:5] offset:48
	global_load_ubyte v5, v1, s[4:5] offset:50
	v_mov_b32_e32 v1, 8
	s_load_dwordx8 s[4:11], s[4:5], 0x0
	v_lshlrev_b32_e32 v2, 1, v9
	v_and_b32_e32 v11, 0x3ff, v0
	v_ashrrev_i32_e32 v3, 31, v2
	v_mov_b32_e32 v0, 0xff800000
	v_cmp_gt_u32_e64 s[0:1], 2, v11
	v_lshlrev_b64 v[2:3], 2, v[2:3]
	v_lshlrev_b32_e32 v10, 2, v11
	s_waitcnt vmcnt(1)
	v_lshrrev_b32_sdwa v1, v1, v4 dst_sel:BYTE_1 dst_unused:UNUSED_PAD src0_sel:DWORD src1_sel:DWORD
	v_or_b32_sdwa v1, v4, v1 dst_sel:DWORD dst_unused:UNUSED_PAD src0_sel:BYTE_0 src1_sel:DWORD
	s_waitcnt vmcnt(0)
	v_readfirstlane_b32 s2, v5
	v_readfirstlane_b32 s3, v1
	s_lshl_b32 s2, s2, 16
	s_and_b32 s3, 0xffff, s3
	s_or_b32 s12, s3, s2
	s_and_saveexec_b64 s[2:3], s[0:1]
	s_cbranch_execz .LBB1_3
; %bb.2:
	s_waitcnt lgkmcnt(0)
	v_mov_b32_e32 v0, s5
	v_add_co_u32_e32 v1, vcc, s4, v2
	v_addc_co_u32_e32 v4, vcc, v0, v3, vcc
	v_add_co_u32_e32 v0, vcc, v1, v10
	v_addc_co_u32_e32 v1, vcc, 0, v4, vcc
	global_load_dword v0, v[0:1], off
.LBB1_3:
	s_or_b64 exec, exec, s[2:3]
	s_bitcmp1_b32 s12, 16
	s_waitcnt lgkmcnt(0)
	s_cselect_b64 s[4:5], -1, 0
	s_and_b64 vcc, exec, s[4:5]
	s_cbranch_vccnz .LBB1_9
; %bb.4:
	s_bitcmp0_b32 s12, 0
	s_cbranch_scc0 .LBB1_6
; %bb.5:
	v_mbcnt_lo_u32_b32 v4, -1, 0
	v_mbcnt_hi_u32_b32 v4, -1, v4
	v_and_b32_e32 v5, 0x60, v4
	v_add_u32_e32 v5, 32, v5
	v_xor_b32_e32 v6, 16, v4
	v_cmp_lt_i32_e32 vcc, v6, v5
	s_waitcnt vmcnt(0)
	v_max_f32_e32 v1, v0, v0
	v_cndmask_b32_e32 v6, v4, v6, vcc
	v_max_f32_e32 v1, 0xff800000, v1
	v_lshlrev_b32_e32 v6, 2, v6
	ds_bpermute_b32 v7, v6, v1
	s_mov_b32 s2, 0x3fb8aa3b
	s_waitcnt lgkmcnt(0)
	v_max_f32_e32 v7, v7, v7
	v_max_f32_e32 v1, v1, v7
	v_xor_b32_e32 v7, 8, v4
	v_cmp_lt_i32_e32 vcc, v7, v5
	v_cndmask_b32_e32 v7, v4, v7, vcc
	v_lshlrev_b32_e32 v7, 2, v7
	ds_bpermute_b32 v8, v7, v1
	s_waitcnt lgkmcnt(0)
	v_max_f32_e32 v8, v8, v8
	v_max_f32_e32 v1, v1, v8
	v_xor_b32_e32 v8, 4, v4
	v_cmp_lt_i32_e32 vcc, v8, v5
	v_cndmask_b32_e32 v8, v4, v8, vcc
	v_lshlrev_b32_e32 v8, 2, v8
	ds_bpermute_b32 v12, v8, v1
	;; [unrolled: 8-line block ×4, first 2 shown]
	s_waitcnt lgkmcnt(0)
	v_max_f32_e32 v5, v5, v5
	v_max_f32_e32 v1, v1, v5
	v_sub_f32_e32 v1, v0, v1
	v_mul_f32_e32 v5, 0x3fb8aa3b, v1
	v_fma_f32 v13, v1, s2, -v5
	v_rndne_f32_e32 v14, v5
	v_fmac_f32_e32 v13, 0x32a5705f, v1
	v_sub_f32_e32 v5, v5, v14
	v_add_f32_e32 v5, v5, v13
	v_exp_f32_e32 v5, v5
	v_cvt_i32_f32_e32 v13, v14
	s_mov_b32 s2, 0xc2ce8ed0
	v_cmp_ngt_f32_e32 vcc, s2, v1
	s_mov_b32 s2, 0x42b17218
	v_ldexp_f32 v5, v5, v13
	v_cndmask_b32_e32 v5, 0, v5, vcc
	v_mov_b32_e32 v13, 0x7f800000
	v_cmp_nlt_f32_e32 vcc, s2, v1
	v_cndmask_b32_e32 v1, v13, v5, vcc
	ds_bpermute_b32 v5, v6, v1
	s_waitcnt lgkmcnt(0)
	v_add_f32_e32 v5, v1, v5
	ds_bpermute_b32 v6, v7, v5
	s_waitcnt lgkmcnt(0)
	v_add_f32_e32 v5, v5, v6
	;; [unrolled: 3-line block ×5, first 2 shown]
	v_div_scale_f32 v5, s[2:3], v4, v4, 1.0
	v_rcp_f32_e32 v6, v5
	v_div_scale_f32 v7, vcc, 1.0, v4, 1.0
	v_fma_f32 v8, -v5, v6, 1.0
	v_fmac_f32_e32 v6, v8, v6
	v_mul_f32_e32 v8, v7, v6
	v_fma_f32 v12, -v5, v8, v7
	v_fmac_f32_e32 v8, v12, v6
	v_fma_f32 v5, -v5, v8, v7
	v_div_fmas_f32 v5, v5, v6, v8
	v_div_fixup_f32 v4, v5, v4, 1.0
	v_mul_f32_e32 v1, v1, v4
	s_cbranch_execz .LBB1_7
	s_branch .LBB1_8
.LBB1_6:
                                        ; implicit-def: $vgpr1
.LBB1_7:
	s_waitcnt vmcnt(0)
	v_mul_f32_e32 v1, 0xbfb8aa3b, v0
	s_mov_b32 s2, 0xbfb8aa3b
	v_rndne_f32_e32 v4, v1
	v_sub_f32_e32 v5, v1, v4
	v_fma_f32 v1, v0, s2, -v1
	v_fmac_f32_e32 v1, 0xb2a5705f, v0
	v_add_f32_e32 v1, v5, v1
	v_exp_f32_e32 v1, v1
	v_cvt_i32_f32_e32 v4, v4
	s_mov_b32 s2, 0x42ce8ed0
	v_cmp_nlt_f32_e32 vcc, s2, v0
	s_mov_b32 s2, 0xc2b17218
	v_ldexp_f32 v1, v1, v4
	v_cndmask_b32_e32 v1, 0, v1, vcc
	v_mov_b32_e32 v4, 0x7f800000
	v_cmp_ngt_f32_e32 vcc, s2, v0
	v_cndmask_b32_e32 v0, v4, v1, vcc
	v_add_f32_e32 v0, 1.0, v0
	v_div_scale_f32 v1, s[2:3], v0, v0, 1.0
	v_rcp_f32_e32 v4, v1
	v_fma_f32 v5, -v1, v4, 1.0
	v_fmac_f32_e32 v4, v5, v4
	v_div_scale_f32 v5, vcc, 1.0, v0, 1.0
	v_mul_f32_e32 v6, v5, v4
	v_fma_f32 v7, -v1, v6, v5
	v_fmac_f32_e32 v6, v7, v4
	v_fma_f32 v1, -v1, v6, v5
	v_div_fmas_f32 v1, v1, v4, v6
	v_div_fixup_f32 v1, v1, v0, 1.0
.LBB1_8:
	s_waitcnt vmcnt(0)
	v_mov_b32_e32 v0, v1
.LBB1_9:
	v_mov_b32_e32 v1, 0xff7fffff
	s_waitcnt vmcnt(0)
	v_cmp_o_f32_e32 vcc, v0, v0
	v_cndmask_b32_e32 v0, v1, v0, vcc
	v_mov_b32_e32 v1, 0xff800000
	s_and_saveexec_b64 s[2:3], s[0:1]
	s_cbranch_execz .LBB1_11
; %bb.10:
	global_load_dword v1, v10, s[10:11]
	s_waitcnt vmcnt(0)
	v_add_f32_e32 v1, v0, v1
.LBB1_11:
	s_or_b64 exec, exec, s[2:3]
	s_lshr_b32 s2, s12, 8
	s_cmp_gt_i32 s13, 0
	s_mov_b32 s3, 0
	s_cbranch_scc1 .LBB1_13
; %bb.12:
	s_bitcmp1_b32 s2, 0
	s_mov_b64 s[0:1], 0
	s_cselect_b64 s[10:11], -1, 0
	s_branch .LBB1_14
.LBB1_13:
	s_mov_b64 s[0:1], -1
                                        ; implicit-def: $sgpr3
                                        ; implicit-def: $sgpr10_sgpr11
.LBB1_14:
	s_andn2_b64 vcc, exec, s[0:1]
	v_mov_b32_e32 v14, s3
	v_mbcnt_lo_u32_b32 v13, -1, 0
	v_mov_b32_e32 v12, s3
	s_cbranch_vccnz .LBB1_33
; %bb.15:
	v_mov_b32_e32 v4, s9
	v_add_co_u32_e32 v2, vcc, s8, v2
	v_addc_co_u32_e32 v3, vcc, v4, v3, vcc
	v_mbcnt_hi_u32_b32 v4, -1, v13
	v_and_b32_e32 v5, 0x60, v4
	v_add_u32_e32 v5, 32, v5
	v_xor_b32_e32 v6, 16, v4
	v_cmp_lt_i32_e32 vcc, v6, v5
	v_cndmask_b32_e32 v6, v4, v6, vcc
	v_lshlrev_b32_e32 v15, 2, v6
	v_xor_b32_e32 v6, 8, v4
	v_cmp_lt_i32_e32 vcc, v6, v5
	v_cndmask_b32_e32 v6, v4, v6, vcc
	v_lshlrev_b32_e32 v16, 2, v6
	;; [unrolled: 4-line block ×4, first 2 shown]
	v_xor_b32_e32 v6, 1, v4
	v_cmp_lt_i32_e32 vcc, v6, v5
	s_bitcmp1_b32 s2, 0
	v_cndmask_b32_e32 v4, v4, v6, vcc
	s_mov_b32 s12, 0
	s_cselect_b64 s[10:11], -1, 0
	v_lshlrev_b32_e32 v19, 2, v4
	v_mov_b32_e32 v14, 0
	v_mov_b32_e32 v20, 0xff800000
	;; [unrolled: 1-line block ×3, first 2 shown]
	s_branch .LBB1_17
.LBB1_16:                               ;   in Loop: Header=BB1_17 Depth=1
	s_or_b64 exec, exec, s[0:1]
	s_and_b32 s0, s12, 31
	v_cndmask_b32_e32 v1, v1, v20, vcc
	v_cmp_eq_u32_e32 vcc, s0, v11
	v_cndmask_b32_e32 v12, v12, v4, vcc
	s_add_i32 s12, s12, 1
	v_add_co_u32_e32 v2, vcc, 4, v2
	s_cmp_eq_u32 s13, s12
	v_addc_co_u32_e32 v3, vcc, 0, v3, vcc
	s_cbranch_scc1 .LBB1_33
.LBB1_17:                               ; =>This Inner Loop Header: Depth=1
	ds_bpermute_b32 v7, v15, v1
	ds_bpermute_b32 v8, v15, v11
	;; [unrolled: 1-line block ×3, first 2 shown]
	v_mov_b32_e32 v21, v1
	v_mov_b32_e32 v23, v0
	s_waitcnt lgkmcnt(2)
	v_cmp_eq_f32_e64 s[0:1], v1, v7
	s_waitcnt lgkmcnt(1)
	v_cmp_lt_i32_e64 s[2:3], v8, v11
	v_cmp_lt_f32_e32 vcc, v1, v7
	s_and_b64 s[0:1], s[0:1], s[2:3]
	s_or_b64 s[2:3], vcc, s[0:1]
	v_mov_b32_e32 v22, v11
	v_pk_mov_b32 v[4:5], v[0:1], v[0:1] op_sel:[0,1]
	s_and_saveexec_b64 s[0:1], s[2:3]
	s_cbranch_execz .LBB1_19
; %bb.18:                               ;   in Loop: Header=BB1_17 Depth=1
	v_mov_b32_e32 v21, v7
	s_waitcnt lgkmcnt(0)
	v_mov_b32_e32 v23, v6
	v_mov_b32_e32 v22, v8
	v_pk_mov_b32 v[4:5], v[6:7], v[6:7] op_sel:[0,1]
.LBB1_19:                               ;   in Loop: Header=BB1_17 Depth=1
	s_or_b64 exec, exec, s[0:1]
	ds_bpermute_b32 v25, v16, v21
	ds_bpermute_b32 v8, v16, v23
	;; [unrolled: 1-line block ×3, first 2 shown]
	s_waitcnt lgkmcnt(2)
	v_cmp_lt_f32_e64 s[2:3], v5, v25
	v_cmp_nlt_f32_e32 vcc, v5, v25
	s_and_saveexec_b64 s[8:9], vcc
	s_cbranch_execz .LBB1_21
; %bb.20:                               ;   in Loop: Header=BB1_17 Depth=1
	v_cmp_eq_f32_e32 vcc, v5, v25
	s_waitcnt lgkmcnt(0)
	v_cmp_lt_i32_e64 s[0:1], v24, v22
	s_and_b64 s[0:1], vcc, s[0:1]
	s_andn2_b64 s[2:3], s[2:3], exec
	s_and_b64 s[0:1], s[0:1], exec
	s_or_b64 s[2:3], s[2:3], s[0:1]
.LBB1_21:                               ;   in Loop: Header=BB1_17 Depth=1
	s_or_b64 exec, exec, s[8:9]
	v_pk_mov_b32 v[6:7], v[4:5], v[4:5] op_sel:[0,1]
	s_and_saveexec_b64 s[0:1], s[2:3]
	s_cbranch_execz .LBB1_23
; %bb.22:                               ;   in Loop: Header=BB1_17 Depth=1
	v_mov_b32_e32 v5, v25
	v_mov_b32_e32 v21, v25
	s_waitcnt lgkmcnt(1)
	v_mov_b32_e32 v23, v8
	s_waitcnt lgkmcnt(0)
	v_mov_b32_e32 v22, v24
	v_pk_mov_b32 v[6:7], v[8:9], v[8:9] op_sel:[0,1]
.LBB1_23:                               ;   in Loop: Header=BB1_17 Depth=1
	s_or_b64 exec, exec, s[0:1]
	s_waitcnt lgkmcnt(1)
	ds_bpermute_b32 v8, v17, v21
	ds_bpermute_b32 v4, v17, v23
	;; [unrolled: 1-line block ×3, first 2 shown]
	s_waitcnt lgkmcnt(2)
	v_cmp_lt_f32_e64 s[2:3], v5, v8
	v_cmp_nlt_f32_e32 vcc, v5, v8
	s_and_saveexec_b64 s[8:9], vcc
	s_cbranch_execz .LBB1_25
; %bb.24:                               ;   in Loop: Header=BB1_17 Depth=1
	v_cmp_eq_f32_e32 vcc, v5, v8
	s_waitcnt lgkmcnt(0)
	v_cmp_lt_i32_e64 s[0:1], v7, v22
	s_and_b64 s[0:1], vcc, s[0:1]
	s_andn2_b64 s[2:3], s[2:3], exec
	s_and_b64 s[0:1], s[0:1], exec
	s_or_b64 s[2:3], s[2:3], s[0:1]
.LBB1_25:                               ;   in Loop: Header=BB1_17 Depth=1
	s_or_b64 exec, exec, s[8:9]
	s_and_saveexec_b64 s[0:1], s[2:3]
	s_cbranch_execz .LBB1_27
; %bb.26:                               ;   in Loop: Header=BB1_17 Depth=1
	v_mov_b32_e32 v5, v8
	v_mov_b32_e32 v21, v8
	s_waitcnt lgkmcnt(1)
	v_mov_b32_e32 v23, v4
	s_waitcnt lgkmcnt(0)
	v_mov_b32_e32 v22, v7
	v_pk_mov_b32 v[6:7], v[4:5], v[4:5] op_sel:[0,1]
.LBB1_27:                               ;   in Loop: Header=BB1_17 Depth=1
	s_or_b64 exec, exec, s[0:1]
	ds_bpermute_b32 v8, v18, v21
	s_waitcnt lgkmcnt(2)
	ds_bpermute_b32 v4, v18, v23
	s_waitcnt lgkmcnt(2)
	;; [unrolled: 2-line block ×3, first 2 shown]
	v_cmp_lt_f32_e64 s[2:3], v5, v8
	v_cmp_nlt_f32_e32 vcc, v5, v8
	s_and_saveexec_b64 s[8:9], vcc
	s_cbranch_execz .LBB1_29
; %bb.28:                               ;   in Loop: Header=BB1_17 Depth=1
	v_cmp_eq_f32_e32 vcc, v5, v8
	s_waitcnt lgkmcnt(0)
	v_cmp_lt_i32_e64 s[0:1], v7, v22
	s_and_b64 s[0:1], vcc, s[0:1]
	s_andn2_b64 s[2:3], s[2:3], exec
	s_and_b64 s[0:1], s[0:1], exec
	s_or_b64 s[2:3], s[2:3], s[0:1]
.LBB1_29:                               ;   in Loop: Header=BB1_17 Depth=1
	s_or_b64 exec, exec, s[8:9]
	s_and_saveexec_b64 s[0:1], s[2:3]
	s_cbranch_execz .LBB1_31
; %bb.30:                               ;   in Loop: Header=BB1_17 Depth=1
	v_mov_b32_e32 v5, v8
	v_mov_b32_e32 v21, v8
	s_waitcnt lgkmcnt(1)
	v_mov_b32_e32 v23, v4
	s_waitcnt lgkmcnt(0)
	v_mov_b32_e32 v22, v7
	v_pk_mov_b32 v[6:7], v[4:5], v[4:5] op_sel:[0,1]
.LBB1_31:                               ;   in Loop: Header=BB1_17 Depth=1
	s_or_b64 exec, exec, s[0:1]
	s_waitcnt lgkmcnt(1)
	ds_bpermute_b32 v4, v19, v21
	s_waitcnt lgkmcnt(1)
	ds_bpermute_b32 v7, v19, v22
	ds_bpermute_b32 v8, v19, v23
	s_waitcnt lgkmcnt(2)
	v_cmp_eq_f32_e64 s[0:1], v5, v4
	s_waitcnt lgkmcnt(1)
	v_cmp_lt_i32_e64 s[2:3], v7, v22
	v_cmp_lt_f32_e32 vcc, v5, v4
	s_and_b64 s[0:1], s[0:1], s[2:3]
	s_or_b64 vcc, vcc, s[0:1]
	v_cndmask_b32_e32 v5, v22, v7, vcc
	s_waitcnt lgkmcnt(0)
	v_cndmask_b32_e32 v4, v6, v8, vcc
	v_and_b32_e32 v6, 31, v5
	v_cmp_eq_u32_e32 vcc, v6, v11
	s_and_saveexec_b64 s[0:1], vcc
	s_cbranch_execz .LBB1_16
; %bb.32:                               ;   in Loop: Header=BB1_17 Depth=1
	v_add_f32_e32 v6, v14, v4
	v_cndmask_b32_e64 v14, v14, v6, s[10:11]
	global_store_dword v[2:3], v5, off
	s_branch .LBB1_16
.LBB1_33:
	s_and_b64 vcc, exec, s[10:11]
	s_cbranch_vccnz .LBB1_38
; %bb.34:
	s_andn2_b64 vcc, exec, s[4:5]
	v_cmp_gt_i32_e64 s[0:1], s13, v11
	s_cbranch_vccz .LBB1_39
.LBB1_35:
	v_cmp_gt_i32_e32 vcc, s13, v11
	s_and_b64 exec, exec, vcc
	s_cbranch_execz .LBB1_37
.LBB1_36:
	v_mul_lo_u32 v0, v9, s13
	v_ashrrev_i32_e32 v1, 31, v0
	v_lshlrev_b64 v[0:1], 2, v[0:1]
	s_waitcnt lgkmcnt(0)
	v_mov_b32_e32 v2, s7
	v_add_co_u32_e32 v0, vcc, s6, v0
	v_addc_co_u32_e32 v1, vcc, v2, v1, vcc
	v_add_co_u32_e32 v0, vcc, v0, v10
	v_addc_co_u32_e32 v1, vcc, 0, v1, vcc
	v_mul_f32_e32 v2, s15, v12
	global_store_dword v[0:1], v2, off
.LBB1_37:
	s_endpgm
.LBB1_38:
	v_mbcnt_hi_u32_b32 v0, -1, v13
	v_and_b32_e32 v1, 0x60, v0
	v_add_u32_e32 v1, 32, v1
	v_xor_b32_e32 v2, 16, v0
	v_cmp_lt_i32_e32 vcc, v2, v1
	v_cndmask_b32_e32 v2, v0, v2, vcc
	v_lshlrev_b32_e32 v2, 2, v2
	ds_bpermute_b32 v2, v2, v14
	v_xor_b32_e32 v3, 8, v0
	v_cmp_lt_i32_e32 vcc, v3, v1
	v_cndmask_b32_e32 v3, v0, v3, vcc
	v_lshlrev_b32_e32 v3, 2, v3
	s_waitcnt lgkmcnt(0)
	v_add_f32_e32 v2, v14, v2
	ds_bpermute_b32 v3, v3, v2
	v_xor_b32_e32 v4, 4, v0
	v_cmp_lt_i32_e32 vcc, v4, v1
	s_waitcnt lgkmcnt(0)
	v_add_f32_e32 v2, v2, v3
	v_cndmask_b32_e32 v3, v0, v4, vcc
	v_lshlrev_b32_e32 v3, 2, v3
	ds_bpermute_b32 v3, v3, v2
	v_xor_b32_e32 v4, 2, v0
	v_cmp_lt_i32_e32 vcc, v4, v1
	s_waitcnt lgkmcnt(0)
	v_add_f32_e32 v2, v2, v3
	v_cndmask_b32_e32 v3, v0, v4, vcc
	v_lshlrev_b32_e32 v3, 2, v3
	ds_bpermute_b32 v3, v3, v2
	v_xor_b32_e32 v4, 1, v0
	v_cmp_lt_i32_e32 vcc, v4, v1
	v_cndmask_b32_e32 v0, v0, v4, vcc
	v_lshlrev_b32_e32 v0, 2, v0
	s_waitcnt lgkmcnt(0)
	v_add_f32_e32 v2, v2, v3
	ds_bpermute_b32 v0, v0, v2
	v_max_f32_e64 v1, s14, s14
	s_waitcnt lgkmcnt(0)
	v_add_f32_e32 v0, v2, v0
	v_max_f32_e32 v0, v0, v1
	v_div_scale_f32 v1, s[0:1], v0, v0, 1.0
	v_rcp_f32_e32 v2, v1
	v_div_scale_f32 v3, vcc, 1.0, v0, 1.0
	v_fma_f32 v4, -v1, v2, 1.0
	v_fmac_f32_e32 v2, v4, v2
	v_mul_f32_e32 v4, v3, v2
	v_fma_f32 v5, -v1, v4, v3
	v_fmac_f32_e32 v4, v5, v2
	v_fma_f32 v1, -v1, v4, v3
	v_div_fmas_f32 v1, v1, v2, v4
	v_div_fixup_f32 v0, v1, v0, 1.0
	v_mul_f32_e32 v12, v12, v0
	s_andn2_b64 vcc, exec, s[4:5]
	v_cmp_gt_i32_e64 s[0:1], s13, v11
	s_cbranch_vccnz .LBB1_35
.LBB1_39:
	v_max_f32_e32 v0, v12, v12
	v_max_f32_e32 v0, 0xff800000, v0
	v_mov_b32_e32 v1, 0xff800000
	v_cndmask_b32_e64 v0, v1, v0, s[0:1]
	v_mbcnt_hi_u32_b32 v1, -1, v13
	v_and_b32_e32 v2, 0x60, v1
	v_add_u32_e32 v2, 32, v2
	v_xor_b32_e32 v3, 16, v1
	v_cmp_lt_i32_e32 vcc, v3, v2
	v_cndmask_b32_e32 v3, v1, v3, vcc
	v_lshlrev_b32_e32 v3, 2, v3
	ds_bpermute_b32 v4, v3, v0
	s_mov_b32 s2, 0x3fb8aa3b
	s_waitcnt lgkmcnt(0)
	v_max_f32_e32 v4, v4, v4
	v_max_f32_e32 v0, v0, v4
	v_xor_b32_e32 v4, 8, v1
	v_cmp_lt_i32_e32 vcc, v4, v2
	v_cndmask_b32_e32 v4, v1, v4, vcc
	v_lshlrev_b32_e32 v4, 2, v4
	ds_bpermute_b32 v5, v4, v0
	s_waitcnt lgkmcnt(0)
	v_max_f32_e32 v5, v5, v5
	v_max_f32_e32 v0, v0, v5
	v_xor_b32_e32 v5, 4, v1
	v_cmp_lt_i32_e32 vcc, v5, v2
	v_cndmask_b32_e32 v5, v1, v5, vcc
	v_lshlrev_b32_e32 v5, 2, v5
	ds_bpermute_b32 v6, v5, v0
	;; [unrolled: 8-line block ×4, first 2 shown]
	s_waitcnt lgkmcnt(0)
	v_max_f32_e32 v1, v1, v1
	v_max_f32_e32 v0, v0, v1
	v_sub_f32_e32 v0, v12, v0
	v_mul_f32_e32 v1, 0x3fb8aa3b, v0
	v_fma_f32 v7, v0, s2, -v1
	v_rndne_f32_e32 v8, v1
	v_fmac_f32_e32 v7, 0x32a5705f, v0
	v_sub_f32_e32 v1, v1, v8
	v_add_f32_e32 v1, v1, v7
	v_exp_f32_e32 v1, v1
	v_cvt_i32_f32_e32 v7, v8
	s_mov_b32 s2, 0xc2ce8ed0
	v_cmp_ngt_f32_e32 vcc, s2, v0
	s_mov_b32 s2, 0x42b17218
	v_ldexp_f32 v1, v1, v7
	v_cndmask_b32_e32 v1, 0, v1, vcc
	v_mov_b32_e32 v7, 0x7f800000
	v_cmp_nlt_f32_e32 vcc, s2, v0
	v_cndmask_b32_e32 v0, v7, v1, vcc
	v_cndmask_b32_e64 v1, 0, v0, s[0:1]
	ds_bpermute_b32 v3, v3, v1
	v_mov_b32_e32 v12, 0
	s_waitcnt lgkmcnt(0)
	v_add_f32_e32 v1, v1, v3
	ds_bpermute_b32 v3, v4, v1
	s_waitcnt lgkmcnt(0)
	v_add_f32_e32 v1, v1, v3
	ds_bpermute_b32 v3, v5, v1
	;; [unrolled: 3-line block ×4, first 2 shown]
	s_and_saveexec_b64 s[2:3], s[0:1]
	s_cbranch_execz .LBB1_41
; %bb.40:
	s_waitcnt lgkmcnt(0)
	v_add_f32_e32 v1, v1, v2
	v_div_scale_f32 v2, s[0:1], v1, v1, 1.0
	v_rcp_f32_e32 v3, v2
	v_div_scale_f32 v4, vcc, 1.0, v1, 1.0
	v_fma_f32 v5, -v2, v3, 1.0
	v_fmac_f32_e32 v3, v5, v3
	v_mul_f32_e32 v5, v4, v3
	v_fma_f32 v6, -v2, v5, v4
	v_fmac_f32_e32 v5, v6, v3
	v_fma_f32 v2, -v2, v5, v4
	v_div_fmas_f32 v2, v2, v3, v5
	v_div_fixup_f32 v1, v2, v1, 1.0
	v_mul_f32_e32 v12, v0, v1
.LBB1_41:
	s_or_b64 exec, exec, s[2:3]
	v_cmp_gt_i32_e32 vcc, s13, v11
	s_and_b64 exec, exec, vcc
	s_cbranch_execnz .LBB1_36
	s_branch .LBB1_37
	.section	.rodata,"a",@progbits
	.p2align	6, 0x0
	.amdhsa_kernel _Z13topk_moe_cudaILi2ELb1EEvPKfPfPiS2_iiff15topk_moe_config
		.amdhsa_group_segment_fixed_size 0
		.amdhsa_private_segment_fixed_size 0
		.amdhsa_kernarg_size 312
		.amdhsa_user_sgpr_count 6
		.amdhsa_user_sgpr_private_segment_buffer 1
		.amdhsa_user_sgpr_dispatch_ptr 0
		.amdhsa_user_sgpr_queue_ptr 0
		.amdhsa_user_sgpr_kernarg_segment_ptr 1
		.amdhsa_user_sgpr_dispatch_id 0
		.amdhsa_user_sgpr_flat_scratch_init 0
		.amdhsa_user_sgpr_kernarg_preload_length 0
		.amdhsa_user_sgpr_kernarg_preload_offset 0
		.amdhsa_user_sgpr_private_segment_size 0
		.amdhsa_uses_dynamic_stack 0
		.amdhsa_system_sgpr_private_segment_wavefront_offset 0
		.amdhsa_system_sgpr_workgroup_id_x 1
		.amdhsa_system_sgpr_workgroup_id_y 0
		.amdhsa_system_sgpr_workgroup_id_z 0
		.amdhsa_system_sgpr_workgroup_info 0
		.amdhsa_system_vgpr_workitem_id 1
		.amdhsa_next_free_vgpr 26
		.amdhsa_next_free_sgpr 16
		.amdhsa_accum_offset 28
		.amdhsa_reserve_vcc 1
		.amdhsa_reserve_flat_scratch 0
		.amdhsa_float_round_mode_32 0
		.amdhsa_float_round_mode_16_64 0
		.amdhsa_float_denorm_mode_32 3
		.amdhsa_float_denorm_mode_16_64 3
		.amdhsa_dx10_clamp 1
		.amdhsa_ieee_mode 1
		.amdhsa_fp16_overflow 0
		.amdhsa_tg_split 0
		.amdhsa_exception_fp_ieee_invalid_op 0
		.amdhsa_exception_fp_denorm_src 0
		.amdhsa_exception_fp_ieee_div_zero 0
		.amdhsa_exception_fp_ieee_overflow 0
		.amdhsa_exception_fp_ieee_underflow 0
		.amdhsa_exception_fp_ieee_inexact 0
		.amdhsa_exception_int_div_zero 0
	.end_amdhsa_kernel
	.section	.text._Z13topk_moe_cudaILi2ELb1EEvPKfPfPiS2_iiff15topk_moe_config,"axG",@progbits,_Z13topk_moe_cudaILi2ELb1EEvPKfPfPiS2_iiff15topk_moe_config,comdat
.Lfunc_end1:
	.size	_Z13topk_moe_cudaILi2ELb1EEvPKfPfPiS2_iiff15topk_moe_config, .Lfunc_end1-_Z13topk_moe_cudaILi2ELb1EEvPKfPfPiS2_iiff15topk_moe_config
                                        ; -- End function
	.section	.AMDGPU.csdata,"",@progbits
; Kernel info:
; codeLenInByte = 2776
; NumSgprs: 20
; NumVgprs: 26
; NumAgprs: 0
; TotalNumVgprs: 26
; ScratchSize: 0
; MemoryBound: 0
; FloatMode: 240
; IeeeMode: 1
; LDSByteSize: 0 bytes/workgroup (compile time only)
; SGPRBlocks: 2
; VGPRBlocks: 3
; NumSGPRsForWavesPerEU: 20
; NumVGPRsForWavesPerEU: 26
; AccumOffset: 28
; Occupancy: 8
; WaveLimiterHint : 0
; COMPUTE_PGM_RSRC2:SCRATCH_EN: 0
; COMPUTE_PGM_RSRC2:USER_SGPR: 6
; COMPUTE_PGM_RSRC2:TRAP_HANDLER: 0
; COMPUTE_PGM_RSRC2:TGID_X_EN: 1
; COMPUTE_PGM_RSRC2:TGID_Y_EN: 0
; COMPUTE_PGM_RSRC2:TGID_Z_EN: 0
; COMPUTE_PGM_RSRC2:TIDIG_COMP_CNT: 1
; COMPUTE_PGM_RSRC3_GFX90A:ACCUM_OFFSET: 6
; COMPUTE_PGM_RSRC3_GFX90A:TG_SPLIT: 0
	.section	.text._Z13topk_moe_cudaILi4ELb1EEvPKfPfPiS2_iiff15topk_moe_config,"axG",@progbits,_Z13topk_moe_cudaILi4ELb1EEvPKfPfPiS2_iiff15topk_moe_config,comdat
	.protected	_Z13topk_moe_cudaILi4ELb1EEvPKfPfPiS2_iiff15topk_moe_config ; -- Begin function _Z13topk_moe_cudaILi4ELb1EEvPKfPfPiS2_iiff15topk_moe_config
	.globl	_Z13topk_moe_cudaILi4ELb1EEvPKfPfPiS2_iiff15topk_moe_config
	.p2align	8
	.type	_Z13topk_moe_cudaILi4ELb1EEvPKfPfPiS2_iiff15topk_moe_config,@function
_Z13topk_moe_cudaILi4ELb1EEvPKfPfPiS2_iiff15topk_moe_config: ; @_Z13topk_moe_cudaILi4ELb1EEvPKfPfPiS2_iiff15topk_moe_config
; %bb.0:
	s_load_dword s0, s[4:5], 0x44
	s_load_dwordx4 s[12:15], s[4:5], 0x20
	v_bfe_u32 v1, v0, 10, 10
	s_waitcnt lgkmcnt(0)
	s_lshr_b32 s0, s0, 16
	s_mul_i32 s6, s6, s0
	v_add_u32_e32 v9, s6, v1
	v_cmp_gt_i32_e32 vcc, s12, v9
	s_and_saveexec_b64 s[0:1], vcc
	s_cbranch_execz .LBB2_37
; %bb.1:
	v_mov_b32_e32 v1, 0
	global_load_ushort v4, v1, s[4:5] offset:48
	global_load_ubyte v5, v1, s[4:5] offset:50
	v_mov_b32_e32 v1, 8
	s_load_dwordx8 s[4:11], s[4:5], 0x0
	v_lshlrev_b32_e32 v2, 2, v9
	v_and_b32_e32 v11, 0x3ff, v0
	v_ashrrev_i32_e32 v3, 31, v2
	v_mov_b32_e32 v0, 0xff800000
	v_cmp_gt_u32_e64 s[0:1], 4, v11
	v_lshlrev_b64 v[2:3], 2, v[2:3]
	v_lshlrev_b32_e32 v10, 2, v11
	s_waitcnt vmcnt(1)
	v_lshrrev_b32_sdwa v1, v1, v4 dst_sel:BYTE_1 dst_unused:UNUSED_PAD src0_sel:DWORD src1_sel:DWORD
	v_or_b32_sdwa v1, v4, v1 dst_sel:DWORD dst_unused:UNUSED_PAD src0_sel:BYTE_0 src1_sel:DWORD
	s_waitcnt vmcnt(0)
	v_readfirstlane_b32 s2, v5
	v_readfirstlane_b32 s3, v1
	s_lshl_b32 s2, s2, 16
	s_and_b32 s3, 0xffff, s3
	s_or_b32 s12, s3, s2
	s_and_saveexec_b64 s[2:3], s[0:1]
	s_cbranch_execz .LBB2_3
; %bb.2:
	s_waitcnt lgkmcnt(0)
	v_mov_b32_e32 v0, s5
	v_add_co_u32_e32 v1, vcc, s4, v2
	v_addc_co_u32_e32 v4, vcc, v0, v3, vcc
	v_add_co_u32_e32 v0, vcc, v1, v10
	v_addc_co_u32_e32 v1, vcc, 0, v4, vcc
	global_load_dword v0, v[0:1], off
.LBB2_3:
	s_or_b64 exec, exec, s[2:3]
	s_bitcmp1_b32 s12, 16
	s_waitcnt lgkmcnt(0)
	s_cselect_b64 s[4:5], -1, 0
	s_and_b64 vcc, exec, s[4:5]
	s_cbranch_vccnz .LBB2_9
; %bb.4:
	s_bitcmp0_b32 s12, 0
	s_cbranch_scc0 .LBB2_6
; %bb.5:
	v_mbcnt_lo_u32_b32 v4, -1, 0
	v_mbcnt_hi_u32_b32 v4, -1, v4
	v_and_b32_e32 v5, 0x60, v4
	v_add_u32_e32 v5, 32, v5
	v_xor_b32_e32 v6, 16, v4
	v_cmp_lt_i32_e32 vcc, v6, v5
	s_waitcnt vmcnt(0)
	v_max_f32_e32 v1, v0, v0
	v_cndmask_b32_e32 v6, v4, v6, vcc
	v_max_f32_e32 v1, 0xff800000, v1
	v_lshlrev_b32_e32 v6, 2, v6
	ds_bpermute_b32 v7, v6, v1
	s_mov_b32 s2, 0x3fb8aa3b
	s_waitcnt lgkmcnt(0)
	v_max_f32_e32 v7, v7, v7
	v_max_f32_e32 v1, v1, v7
	v_xor_b32_e32 v7, 8, v4
	v_cmp_lt_i32_e32 vcc, v7, v5
	v_cndmask_b32_e32 v7, v4, v7, vcc
	v_lshlrev_b32_e32 v7, 2, v7
	ds_bpermute_b32 v8, v7, v1
	s_waitcnt lgkmcnt(0)
	v_max_f32_e32 v8, v8, v8
	v_max_f32_e32 v1, v1, v8
	v_xor_b32_e32 v8, 4, v4
	v_cmp_lt_i32_e32 vcc, v8, v5
	v_cndmask_b32_e32 v8, v4, v8, vcc
	v_lshlrev_b32_e32 v8, 2, v8
	ds_bpermute_b32 v12, v8, v1
	;; [unrolled: 8-line block ×4, first 2 shown]
	s_waitcnt lgkmcnt(0)
	v_max_f32_e32 v5, v5, v5
	v_max_f32_e32 v1, v1, v5
	v_sub_f32_e32 v1, v0, v1
	v_mul_f32_e32 v5, 0x3fb8aa3b, v1
	v_fma_f32 v13, v1, s2, -v5
	v_rndne_f32_e32 v14, v5
	v_fmac_f32_e32 v13, 0x32a5705f, v1
	v_sub_f32_e32 v5, v5, v14
	v_add_f32_e32 v5, v5, v13
	v_exp_f32_e32 v5, v5
	v_cvt_i32_f32_e32 v13, v14
	s_mov_b32 s2, 0xc2ce8ed0
	v_cmp_ngt_f32_e32 vcc, s2, v1
	s_mov_b32 s2, 0x42b17218
	v_ldexp_f32 v5, v5, v13
	v_cndmask_b32_e32 v5, 0, v5, vcc
	v_mov_b32_e32 v13, 0x7f800000
	v_cmp_nlt_f32_e32 vcc, s2, v1
	v_cndmask_b32_e32 v1, v13, v5, vcc
	ds_bpermute_b32 v5, v6, v1
	s_waitcnt lgkmcnt(0)
	v_add_f32_e32 v5, v1, v5
	ds_bpermute_b32 v6, v7, v5
	s_waitcnt lgkmcnt(0)
	v_add_f32_e32 v5, v5, v6
	;; [unrolled: 3-line block ×5, first 2 shown]
	v_div_scale_f32 v5, s[2:3], v4, v4, 1.0
	v_rcp_f32_e32 v6, v5
	v_div_scale_f32 v7, vcc, 1.0, v4, 1.0
	v_fma_f32 v8, -v5, v6, 1.0
	v_fmac_f32_e32 v6, v8, v6
	v_mul_f32_e32 v8, v7, v6
	v_fma_f32 v12, -v5, v8, v7
	v_fmac_f32_e32 v8, v12, v6
	v_fma_f32 v5, -v5, v8, v7
	v_div_fmas_f32 v5, v5, v6, v8
	v_div_fixup_f32 v4, v5, v4, 1.0
	v_mul_f32_e32 v1, v1, v4
	s_cbranch_execz .LBB2_7
	s_branch .LBB2_8
.LBB2_6:
                                        ; implicit-def: $vgpr1
.LBB2_7:
	s_waitcnt vmcnt(0)
	v_mul_f32_e32 v1, 0xbfb8aa3b, v0
	s_mov_b32 s2, 0xbfb8aa3b
	v_rndne_f32_e32 v4, v1
	v_sub_f32_e32 v5, v1, v4
	v_fma_f32 v1, v0, s2, -v1
	v_fmac_f32_e32 v1, 0xb2a5705f, v0
	v_add_f32_e32 v1, v5, v1
	v_exp_f32_e32 v1, v1
	v_cvt_i32_f32_e32 v4, v4
	s_mov_b32 s2, 0x42ce8ed0
	v_cmp_nlt_f32_e32 vcc, s2, v0
	s_mov_b32 s2, 0xc2b17218
	v_ldexp_f32 v1, v1, v4
	v_cndmask_b32_e32 v1, 0, v1, vcc
	v_mov_b32_e32 v4, 0x7f800000
	v_cmp_ngt_f32_e32 vcc, s2, v0
	v_cndmask_b32_e32 v0, v4, v1, vcc
	v_add_f32_e32 v0, 1.0, v0
	v_div_scale_f32 v1, s[2:3], v0, v0, 1.0
	v_rcp_f32_e32 v4, v1
	v_fma_f32 v5, -v1, v4, 1.0
	v_fmac_f32_e32 v4, v5, v4
	v_div_scale_f32 v5, vcc, 1.0, v0, 1.0
	v_mul_f32_e32 v6, v5, v4
	v_fma_f32 v7, -v1, v6, v5
	v_fmac_f32_e32 v6, v7, v4
	v_fma_f32 v1, -v1, v6, v5
	v_div_fmas_f32 v1, v1, v4, v6
	v_div_fixup_f32 v1, v1, v0, 1.0
.LBB2_8:
	s_waitcnt vmcnt(0)
	v_mov_b32_e32 v0, v1
.LBB2_9:
	v_mov_b32_e32 v1, 0xff7fffff
	s_waitcnt vmcnt(0)
	v_cmp_o_f32_e32 vcc, v0, v0
	v_cndmask_b32_e32 v0, v1, v0, vcc
	v_mov_b32_e32 v1, 0xff800000
	s_and_saveexec_b64 s[2:3], s[0:1]
	s_cbranch_execz .LBB2_11
; %bb.10:
	global_load_dword v1, v10, s[10:11]
	s_waitcnt vmcnt(0)
	v_add_f32_e32 v1, v0, v1
.LBB2_11:
	s_or_b64 exec, exec, s[2:3]
	s_lshr_b32 s2, s12, 8
	s_cmp_gt_i32 s13, 0
	s_mov_b32 s3, 0
	s_cbranch_scc1 .LBB2_13
; %bb.12:
	s_bitcmp1_b32 s2, 0
	s_mov_b64 s[0:1], 0
	s_cselect_b64 s[10:11], -1, 0
	s_branch .LBB2_14
.LBB2_13:
	s_mov_b64 s[0:1], -1
                                        ; implicit-def: $sgpr3
                                        ; implicit-def: $sgpr10_sgpr11
.LBB2_14:
	s_andn2_b64 vcc, exec, s[0:1]
	v_mov_b32_e32 v14, s3
	v_mbcnt_lo_u32_b32 v13, -1, 0
	v_mov_b32_e32 v12, s3
	s_cbranch_vccnz .LBB2_33
; %bb.15:
	v_mov_b32_e32 v4, s9
	v_add_co_u32_e32 v2, vcc, s8, v2
	v_addc_co_u32_e32 v3, vcc, v4, v3, vcc
	v_mbcnt_hi_u32_b32 v4, -1, v13
	v_and_b32_e32 v5, 0x60, v4
	v_add_u32_e32 v5, 32, v5
	v_xor_b32_e32 v6, 16, v4
	v_cmp_lt_i32_e32 vcc, v6, v5
	v_cndmask_b32_e32 v6, v4, v6, vcc
	v_lshlrev_b32_e32 v15, 2, v6
	v_xor_b32_e32 v6, 8, v4
	v_cmp_lt_i32_e32 vcc, v6, v5
	v_cndmask_b32_e32 v6, v4, v6, vcc
	v_lshlrev_b32_e32 v16, 2, v6
	;; [unrolled: 4-line block ×4, first 2 shown]
	v_xor_b32_e32 v6, 1, v4
	v_cmp_lt_i32_e32 vcc, v6, v5
	s_bitcmp1_b32 s2, 0
	v_cndmask_b32_e32 v4, v4, v6, vcc
	s_mov_b32 s12, 0
	s_cselect_b64 s[10:11], -1, 0
	v_lshlrev_b32_e32 v19, 2, v4
	v_mov_b32_e32 v14, 0
	v_mov_b32_e32 v20, 0xff800000
	;; [unrolled: 1-line block ×3, first 2 shown]
	s_branch .LBB2_17
.LBB2_16:                               ;   in Loop: Header=BB2_17 Depth=1
	s_or_b64 exec, exec, s[0:1]
	s_and_b32 s0, s12, 31
	v_cndmask_b32_e32 v1, v1, v20, vcc
	v_cmp_eq_u32_e32 vcc, s0, v11
	v_cndmask_b32_e32 v12, v12, v4, vcc
	s_add_i32 s12, s12, 1
	v_add_co_u32_e32 v2, vcc, 4, v2
	s_cmp_eq_u32 s13, s12
	v_addc_co_u32_e32 v3, vcc, 0, v3, vcc
	s_cbranch_scc1 .LBB2_33
.LBB2_17:                               ; =>This Inner Loop Header: Depth=1
	ds_bpermute_b32 v7, v15, v1
	ds_bpermute_b32 v8, v15, v11
	;; [unrolled: 1-line block ×3, first 2 shown]
	v_mov_b32_e32 v21, v1
	v_mov_b32_e32 v23, v0
	s_waitcnt lgkmcnt(2)
	v_cmp_eq_f32_e64 s[0:1], v1, v7
	s_waitcnt lgkmcnt(1)
	v_cmp_lt_i32_e64 s[2:3], v8, v11
	v_cmp_lt_f32_e32 vcc, v1, v7
	s_and_b64 s[0:1], s[0:1], s[2:3]
	s_or_b64 s[2:3], vcc, s[0:1]
	v_mov_b32_e32 v22, v11
	v_pk_mov_b32 v[4:5], v[0:1], v[0:1] op_sel:[0,1]
	s_and_saveexec_b64 s[0:1], s[2:3]
	s_cbranch_execz .LBB2_19
; %bb.18:                               ;   in Loop: Header=BB2_17 Depth=1
	v_mov_b32_e32 v21, v7
	s_waitcnt lgkmcnt(0)
	v_mov_b32_e32 v23, v6
	v_mov_b32_e32 v22, v8
	v_pk_mov_b32 v[4:5], v[6:7], v[6:7] op_sel:[0,1]
.LBB2_19:                               ;   in Loop: Header=BB2_17 Depth=1
	s_or_b64 exec, exec, s[0:1]
	ds_bpermute_b32 v25, v16, v21
	ds_bpermute_b32 v8, v16, v23
	;; [unrolled: 1-line block ×3, first 2 shown]
	s_waitcnt lgkmcnt(2)
	v_cmp_lt_f32_e64 s[2:3], v5, v25
	v_cmp_nlt_f32_e32 vcc, v5, v25
	s_and_saveexec_b64 s[8:9], vcc
	s_cbranch_execz .LBB2_21
; %bb.20:                               ;   in Loop: Header=BB2_17 Depth=1
	v_cmp_eq_f32_e32 vcc, v5, v25
	s_waitcnt lgkmcnt(0)
	v_cmp_lt_i32_e64 s[0:1], v24, v22
	s_and_b64 s[0:1], vcc, s[0:1]
	s_andn2_b64 s[2:3], s[2:3], exec
	s_and_b64 s[0:1], s[0:1], exec
	s_or_b64 s[2:3], s[2:3], s[0:1]
.LBB2_21:                               ;   in Loop: Header=BB2_17 Depth=1
	s_or_b64 exec, exec, s[8:9]
	v_pk_mov_b32 v[6:7], v[4:5], v[4:5] op_sel:[0,1]
	s_and_saveexec_b64 s[0:1], s[2:3]
	s_cbranch_execz .LBB2_23
; %bb.22:                               ;   in Loop: Header=BB2_17 Depth=1
	v_mov_b32_e32 v5, v25
	v_mov_b32_e32 v21, v25
	s_waitcnt lgkmcnt(1)
	v_mov_b32_e32 v23, v8
	s_waitcnt lgkmcnt(0)
	v_mov_b32_e32 v22, v24
	v_pk_mov_b32 v[6:7], v[8:9], v[8:9] op_sel:[0,1]
.LBB2_23:                               ;   in Loop: Header=BB2_17 Depth=1
	s_or_b64 exec, exec, s[0:1]
	s_waitcnt lgkmcnt(1)
	ds_bpermute_b32 v8, v17, v21
	ds_bpermute_b32 v4, v17, v23
	;; [unrolled: 1-line block ×3, first 2 shown]
	s_waitcnt lgkmcnt(2)
	v_cmp_lt_f32_e64 s[2:3], v5, v8
	v_cmp_nlt_f32_e32 vcc, v5, v8
	s_and_saveexec_b64 s[8:9], vcc
	s_cbranch_execz .LBB2_25
; %bb.24:                               ;   in Loop: Header=BB2_17 Depth=1
	v_cmp_eq_f32_e32 vcc, v5, v8
	s_waitcnt lgkmcnt(0)
	v_cmp_lt_i32_e64 s[0:1], v7, v22
	s_and_b64 s[0:1], vcc, s[0:1]
	s_andn2_b64 s[2:3], s[2:3], exec
	s_and_b64 s[0:1], s[0:1], exec
	s_or_b64 s[2:3], s[2:3], s[0:1]
.LBB2_25:                               ;   in Loop: Header=BB2_17 Depth=1
	s_or_b64 exec, exec, s[8:9]
	s_and_saveexec_b64 s[0:1], s[2:3]
	s_cbranch_execz .LBB2_27
; %bb.26:                               ;   in Loop: Header=BB2_17 Depth=1
	v_mov_b32_e32 v5, v8
	v_mov_b32_e32 v21, v8
	s_waitcnt lgkmcnt(1)
	v_mov_b32_e32 v23, v4
	s_waitcnt lgkmcnt(0)
	v_mov_b32_e32 v22, v7
	v_pk_mov_b32 v[6:7], v[4:5], v[4:5] op_sel:[0,1]
.LBB2_27:                               ;   in Loop: Header=BB2_17 Depth=1
	s_or_b64 exec, exec, s[0:1]
	ds_bpermute_b32 v8, v18, v21
	s_waitcnt lgkmcnt(2)
	ds_bpermute_b32 v4, v18, v23
	s_waitcnt lgkmcnt(2)
	;; [unrolled: 2-line block ×3, first 2 shown]
	v_cmp_lt_f32_e64 s[2:3], v5, v8
	v_cmp_nlt_f32_e32 vcc, v5, v8
	s_and_saveexec_b64 s[8:9], vcc
	s_cbranch_execz .LBB2_29
; %bb.28:                               ;   in Loop: Header=BB2_17 Depth=1
	v_cmp_eq_f32_e32 vcc, v5, v8
	s_waitcnt lgkmcnt(0)
	v_cmp_lt_i32_e64 s[0:1], v7, v22
	s_and_b64 s[0:1], vcc, s[0:1]
	s_andn2_b64 s[2:3], s[2:3], exec
	s_and_b64 s[0:1], s[0:1], exec
	s_or_b64 s[2:3], s[2:3], s[0:1]
.LBB2_29:                               ;   in Loop: Header=BB2_17 Depth=1
	s_or_b64 exec, exec, s[8:9]
	s_and_saveexec_b64 s[0:1], s[2:3]
	s_cbranch_execz .LBB2_31
; %bb.30:                               ;   in Loop: Header=BB2_17 Depth=1
	v_mov_b32_e32 v5, v8
	v_mov_b32_e32 v21, v8
	s_waitcnt lgkmcnt(1)
	v_mov_b32_e32 v23, v4
	s_waitcnt lgkmcnt(0)
	v_mov_b32_e32 v22, v7
	v_pk_mov_b32 v[6:7], v[4:5], v[4:5] op_sel:[0,1]
.LBB2_31:                               ;   in Loop: Header=BB2_17 Depth=1
	s_or_b64 exec, exec, s[0:1]
	s_waitcnt lgkmcnt(1)
	ds_bpermute_b32 v4, v19, v21
	s_waitcnt lgkmcnt(1)
	ds_bpermute_b32 v7, v19, v22
	ds_bpermute_b32 v8, v19, v23
	s_waitcnt lgkmcnt(2)
	v_cmp_eq_f32_e64 s[0:1], v5, v4
	s_waitcnt lgkmcnt(1)
	v_cmp_lt_i32_e64 s[2:3], v7, v22
	v_cmp_lt_f32_e32 vcc, v5, v4
	s_and_b64 s[0:1], s[0:1], s[2:3]
	s_or_b64 vcc, vcc, s[0:1]
	v_cndmask_b32_e32 v5, v22, v7, vcc
	s_waitcnt lgkmcnt(0)
	v_cndmask_b32_e32 v4, v6, v8, vcc
	v_and_b32_e32 v6, 31, v5
	v_cmp_eq_u32_e32 vcc, v6, v11
	s_and_saveexec_b64 s[0:1], vcc
	s_cbranch_execz .LBB2_16
; %bb.32:                               ;   in Loop: Header=BB2_17 Depth=1
	v_add_f32_e32 v6, v14, v4
	v_cndmask_b32_e64 v14, v14, v6, s[10:11]
	global_store_dword v[2:3], v5, off
	s_branch .LBB2_16
.LBB2_33:
	s_and_b64 vcc, exec, s[10:11]
	s_cbranch_vccnz .LBB2_38
; %bb.34:
	s_andn2_b64 vcc, exec, s[4:5]
	v_cmp_gt_i32_e64 s[0:1], s13, v11
	s_cbranch_vccz .LBB2_39
.LBB2_35:
	v_cmp_gt_i32_e32 vcc, s13, v11
	s_and_b64 exec, exec, vcc
	s_cbranch_execz .LBB2_37
.LBB2_36:
	v_mul_lo_u32 v0, v9, s13
	v_ashrrev_i32_e32 v1, 31, v0
	v_lshlrev_b64 v[0:1], 2, v[0:1]
	s_waitcnt lgkmcnt(0)
	v_mov_b32_e32 v2, s7
	v_add_co_u32_e32 v0, vcc, s6, v0
	v_addc_co_u32_e32 v1, vcc, v2, v1, vcc
	v_add_co_u32_e32 v0, vcc, v0, v10
	v_addc_co_u32_e32 v1, vcc, 0, v1, vcc
	v_mul_f32_e32 v2, s15, v12
	global_store_dword v[0:1], v2, off
.LBB2_37:
	s_endpgm
.LBB2_38:
	v_mbcnt_hi_u32_b32 v0, -1, v13
	v_and_b32_e32 v1, 0x60, v0
	v_add_u32_e32 v1, 32, v1
	v_xor_b32_e32 v2, 16, v0
	v_cmp_lt_i32_e32 vcc, v2, v1
	v_cndmask_b32_e32 v2, v0, v2, vcc
	v_lshlrev_b32_e32 v2, 2, v2
	ds_bpermute_b32 v2, v2, v14
	v_xor_b32_e32 v3, 8, v0
	v_cmp_lt_i32_e32 vcc, v3, v1
	v_cndmask_b32_e32 v3, v0, v3, vcc
	v_lshlrev_b32_e32 v3, 2, v3
	s_waitcnt lgkmcnt(0)
	v_add_f32_e32 v2, v14, v2
	ds_bpermute_b32 v3, v3, v2
	v_xor_b32_e32 v4, 4, v0
	v_cmp_lt_i32_e32 vcc, v4, v1
	s_waitcnt lgkmcnt(0)
	v_add_f32_e32 v2, v2, v3
	v_cndmask_b32_e32 v3, v0, v4, vcc
	v_lshlrev_b32_e32 v3, 2, v3
	ds_bpermute_b32 v3, v3, v2
	v_xor_b32_e32 v4, 2, v0
	v_cmp_lt_i32_e32 vcc, v4, v1
	s_waitcnt lgkmcnt(0)
	v_add_f32_e32 v2, v2, v3
	v_cndmask_b32_e32 v3, v0, v4, vcc
	v_lshlrev_b32_e32 v3, 2, v3
	ds_bpermute_b32 v3, v3, v2
	v_xor_b32_e32 v4, 1, v0
	v_cmp_lt_i32_e32 vcc, v4, v1
	v_cndmask_b32_e32 v0, v0, v4, vcc
	v_lshlrev_b32_e32 v0, 2, v0
	s_waitcnt lgkmcnt(0)
	v_add_f32_e32 v2, v2, v3
	ds_bpermute_b32 v0, v0, v2
	v_max_f32_e64 v1, s14, s14
	s_waitcnt lgkmcnt(0)
	v_add_f32_e32 v0, v2, v0
	v_max_f32_e32 v0, v0, v1
	v_div_scale_f32 v1, s[0:1], v0, v0, 1.0
	v_rcp_f32_e32 v2, v1
	v_div_scale_f32 v3, vcc, 1.0, v0, 1.0
	v_fma_f32 v4, -v1, v2, 1.0
	v_fmac_f32_e32 v2, v4, v2
	v_mul_f32_e32 v4, v3, v2
	v_fma_f32 v5, -v1, v4, v3
	v_fmac_f32_e32 v4, v5, v2
	v_fma_f32 v1, -v1, v4, v3
	v_div_fmas_f32 v1, v1, v2, v4
	v_div_fixup_f32 v0, v1, v0, 1.0
	v_mul_f32_e32 v12, v12, v0
	s_andn2_b64 vcc, exec, s[4:5]
	v_cmp_gt_i32_e64 s[0:1], s13, v11
	s_cbranch_vccnz .LBB2_35
.LBB2_39:
	v_max_f32_e32 v0, v12, v12
	v_max_f32_e32 v0, 0xff800000, v0
	v_mov_b32_e32 v1, 0xff800000
	v_cndmask_b32_e64 v0, v1, v0, s[0:1]
	v_mbcnt_hi_u32_b32 v1, -1, v13
	v_and_b32_e32 v2, 0x60, v1
	v_add_u32_e32 v2, 32, v2
	v_xor_b32_e32 v3, 16, v1
	v_cmp_lt_i32_e32 vcc, v3, v2
	v_cndmask_b32_e32 v3, v1, v3, vcc
	v_lshlrev_b32_e32 v3, 2, v3
	ds_bpermute_b32 v4, v3, v0
	s_mov_b32 s2, 0x3fb8aa3b
	s_waitcnt lgkmcnt(0)
	v_max_f32_e32 v4, v4, v4
	v_max_f32_e32 v0, v0, v4
	v_xor_b32_e32 v4, 8, v1
	v_cmp_lt_i32_e32 vcc, v4, v2
	v_cndmask_b32_e32 v4, v1, v4, vcc
	v_lshlrev_b32_e32 v4, 2, v4
	ds_bpermute_b32 v5, v4, v0
	s_waitcnt lgkmcnt(0)
	v_max_f32_e32 v5, v5, v5
	v_max_f32_e32 v0, v0, v5
	v_xor_b32_e32 v5, 4, v1
	v_cmp_lt_i32_e32 vcc, v5, v2
	v_cndmask_b32_e32 v5, v1, v5, vcc
	v_lshlrev_b32_e32 v5, 2, v5
	ds_bpermute_b32 v6, v5, v0
	;; [unrolled: 8-line block ×4, first 2 shown]
	s_waitcnt lgkmcnt(0)
	v_max_f32_e32 v1, v1, v1
	v_max_f32_e32 v0, v0, v1
	v_sub_f32_e32 v0, v12, v0
	v_mul_f32_e32 v1, 0x3fb8aa3b, v0
	v_fma_f32 v7, v0, s2, -v1
	v_rndne_f32_e32 v8, v1
	v_fmac_f32_e32 v7, 0x32a5705f, v0
	v_sub_f32_e32 v1, v1, v8
	v_add_f32_e32 v1, v1, v7
	v_exp_f32_e32 v1, v1
	v_cvt_i32_f32_e32 v7, v8
	s_mov_b32 s2, 0xc2ce8ed0
	v_cmp_ngt_f32_e32 vcc, s2, v0
	s_mov_b32 s2, 0x42b17218
	v_ldexp_f32 v1, v1, v7
	v_cndmask_b32_e32 v1, 0, v1, vcc
	v_mov_b32_e32 v7, 0x7f800000
	v_cmp_nlt_f32_e32 vcc, s2, v0
	v_cndmask_b32_e32 v0, v7, v1, vcc
	v_cndmask_b32_e64 v1, 0, v0, s[0:1]
	ds_bpermute_b32 v3, v3, v1
	v_mov_b32_e32 v12, 0
	s_waitcnt lgkmcnt(0)
	v_add_f32_e32 v1, v1, v3
	ds_bpermute_b32 v3, v4, v1
	s_waitcnt lgkmcnt(0)
	v_add_f32_e32 v1, v1, v3
	ds_bpermute_b32 v3, v5, v1
	;; [unrolled: 3-line block ×4, first 2 shown]
	s_and_saveexec_b64 s[2:3], s[0:1]
	s_cbranch_execz .LBB2_41
; %bb.40:
	s_waitcnt lgkmcnt(0)
	v_add_f32_e32 v1, v1, v2
	v_div_scale_f32 v2, s[0:1], v1, v1, 1.0
	v_rcp_f32_e32 v3, v2
	v_div_scale_f32 v4, vcc, 1.0, v1, 1.0
	v_fma_f32 v5, -v2, v3, 1.0
	v_fmac_f32_e32 v3, v5, v3
	v_mul_f32_e32 v5, v4, v3
	v_fma_f32 v6, -v2, v5, v4
	v_fmac_f32_e32 v5, v6, v3
	v_fma_f32 v2, -v2, v5, v4
	v_div_fmas_f32 v2, v2, v3, v5
	v_div_fixup_f32 v1, v2, v1, 1.0
	v_mul_f32_e32 v12, v0, v1
.LBB2_41:
	s_or_b64 exec, exec, s[2:3]
	v_cmp_gt_i32_e32 vcc, s13, v11
	s_and_b64 exec, exec, vcc
	s_cbranch_execnz .LBB2_36
	s_branch .LBB2_37
	.section	.rodata,"a",@progbits
	.p2align	6, 0x0
	.amdhsa_kernel _Z13topk_moe_cudaILi4ELb1EEvPKfPfPiS2_iiff15topk_moe_config
		.amdhsa_group_segment_fixed_size 0
		.amdhsa_private_segment_fixed_size 0
		.amdhsa_kernarg_size 312
		.amdhsa_user_sgpr_count 6
		.amdhsa_user_sgpr_private_segment_buffer 1
		.amdhsa_user_sgpr_dispatch_ptr 0
		.amdhsa_user_sgpr_queue_ptr 0
		.amdhsa_user_sgpr_kernarg_segment_ptr 1
		.amdhsa_user_sgpr_dispatch_id 0
		.amdhsa_user_sgpr_flat_scratch_init 0
		.amdhsa_user_sgpr_kernarg_preload_length 0
		.amdhsa_user_sgpr_kernarg_preload_offset 0
		.amdhsa_user_sgpr_private_segment_size 0
		.amdhsa_uses_dynamic_stack 0
		.amdhsa_system_sgpr_private_segment_wavefront_offset 0
		.amdhsa_system_sgpr_workgroup_id_x 1
		.amdhsa_system_sgpr_workgroup_id_y 0
		.amdhsa_system_sgpr_workgroup_id_z 0
		.amdhsa_system_sgpr_workgroup_info 0
		.amdhsa_system_vgpr_workitem_id 1
		.amdhsa_next_free_vgpr 26
		.amdhsa_next_free_sgpr 16
		.amdhsa_accum_offset 28
		.amdhsa_reserve_vcc 1
		.amdhsa_reserve_flat_scratch 0
		.amdhsa_float_round_mode_32 0
		.amdhsa_float_round_mode_16_64 0
		.amdhsa_float_denorm_mode_32 3
		.amdhsa_float_denorm_mode_16_64 3
		.amdhsa_dx10_clamp 1
		.amdhsa_ieee_mode 1
		.amdhsa_fp16_overflow 0
		.amdhsa_tg_split 0
		.amdhsa_exception_fp_ieee_invalid_op 0
		.amdhsa_exception_fp_denorm_src 0
		.amdhsa_exception_fp_ieee_div_zero 0
		.amdhsa_exception_fp_ieee_overflow 0
		.amdhsa_exception_fp_ieee_underflow 0
		.amdhsa_exception_fp_ieee_inexact 0
		.amdhsa_exception_int_div_zero 0
	.end_amdhsa_kernel
	.section	.text._Z13topk_moe_cudaILi4ELb1EEvPKfPfPiS2_iiff15topk_moe_config,"axG",@progbits,_Z13topk_moe_cudaILi4ELb1EEvPKfPfPiS2_iiff15topk_moe_config,comdat
.Lfunc_end2:
	.size	_Z13topk_moe_cudaILi4ELb1EEvPKfPfPiS2_iiff15topk_moe_config, .Lfunc_end2-_Z13topk_moe_cudaILi4ELb1EEvPKfPfPiS2_iiff15topk_moe_config
                                        ; -- End function
	.section	.AMDGPU.csdata,"",@progbits
; Kernel info:
; codeLenInByte = 2776
; NumSgprs: 20
; NumVgprs: 26
; NumAgprs: 0
; TotalNumVgprs: 26
; ScratchSize: 0
; MemoryBound: 0
; FloatMode: 240
; IeeeMode: 1
; LDSByteSize: 0 bytes/workgroup (compile time only)
; SGPRBlocks: 2
; VGPRBlocks: 3
; NumSGPRsForWavesPerEU: 20
; NumVGPRsForWavesPerEU: 26
; AccumOffset: 28
; Occupancy: 8
; WaveLimiterHint : 0
; COMPUTE_PGM_RSRC2:SCRATCH_EN: 0
; COMPUTE_PGM_RSRC2:USER_SGPR: 6
; COMPUTE_PGM_RSRC2:TRAP_HANDLER: 0
; COMPUTE_PGM_RSRC2:TGID_X_EN: 1
; COMPUTE_PGM_RSRC2:TGID_Y_EN: 0
; COMPUTE_PGM_RSRC2:TGID_Z_EN: 0
; COMPUTE_PGM_RSRC2:TIDIG_COMP_CNT: 1
; COMPUTE_PGM_RSRC3_GFX90A:ACCUM_OFFSET: 6
; COMPUTE_PGM_RSRC3_GFX90A:TG_SPLIT: 0
	.section	.text._Z13topk_moe_cudaILi8ELb1EEvPKfPfPiS2_iiff15topk_moe_config,"axG",@progbits,_Z13topk_moe_cudaILi8ELb1EEvPKfPfPiS2_iiff15topk_moe_config,comdat
	.protected	_Z13topk_moe_cudaILi8ELb1EEvPKfPfPiS2_iiff15topk_moe_config ; -- Begin function _Z13topk_moe_cudaILi8ELb1EEvPKfPfPiS2_iiff15topk_moe_config
	.globl	_Z13topk_moe_cudaILi8ELb1EEvPKfPfPiS2_iiff15topk_moe_config
	.p2align	8
	.type	_Z13topk_moe_cudaILi8ELb1EEvPKfPfPiS2_iiff15topk_moe_config,@function
_Z13topk_moe_cudaILi8ELb1EEvPKfPfPiS2_iiff15topk_moe_config: ; @_Z13topk_moe_cudaILi8ELb1EEvPKfPfPiS2_iiff15topk_moe_config
; %bb.0:
	s_load_dword s0, s[4:5], 0x44
	s_load_dwordx4 s[12:15], s[4:5], 0x20
	v_bfe_u32 v1, v0, 10, 10
	s_waitcnt lgkmcnt(0)
	s_lshr_b32 s0, s0, 16
	s_mul_i32 s6, s6, s0
	v_add_u32_e32 v9, s6, v1
	v_cmp_gt_i32_e32 vcc, s12, v9
	s_and_saveexec_b64 s[0:1], vcc
	s_cbranch_execz .LBB3_37
; %bb.1:
	v_mov_b32_e32 v1, 0
	global_load_ushort v4, v1, s[4:5] offset:48
	global_load_ubyte v5, v1, s[4:5] offset:50
	v_mov_b32_e32 v1, 8
	s_load_dwordx8 s[4:11], s[4:5], 0x0
	v_lshlrev_b32_e32 v2, 3, v9
	v_and_b32_e32 v11, 0x3ff, v0
	v_ashrrev_i32_e32 v3, 31, v2
	v_mov_b32_e32 v0, 0xff800000
	v_cmp_gt_u32_e64 s[0:1], 8, v11
	v_lshlrev_b64 v[2:3], 2, v[2:3]
	v_lshlrev_b32_e32 v10, 2, v11
	s_waitcnt vmcnt(1)
	v_lshrrev_b32_sdwa v1, v1, v4 dst_sel:BYTE_1 dst_unused:UNUSED_PAD src0_sel:DWORD src1_sel:DWORD
	v_or_b32_sdwa v1, v4, v1 dst_sel:DWORD dst_unused:UNUSED_PAD src0_sel:BYTE_0 src1_sel:DWORD
	s_waitcnt vmcnt(0)
	v_readfirstlane_b32 s2, v5
	v_readfirstlane_b32 s3, v1
	s_lshl_b32 s2, s2, 16
	s_and_b32 s3, 0xffff, s3
	s_or_b32 s12, s3, s2
	s_and_saveexec_b64 s[2:3], s[0:1]
	s_cbranch_execz .LBB3_3
; %bb.2:
	s_waitcnt lgkmcnt(0)
	v_mov_b32_e32 v0, s5
	v_add_co_u32_e32 v1, vcc, s4, v2
	v_addc_co_u32_e32 v4, vcc, v0, v3, vcc
	v_add_co_u32_e32 v0, vcc, v1, v10
	v_addc_co_u32_e32 v1, vcc, 0, v4, vcc
	global_load_dword v0, v[0:1], off
.LBB3_3:
	s_or_b64 exec, exec, s[2:3]
	s_bitcmp1_b32 s12, 16
	s_waitcnt lgkmcnt(0)
	s_cselect_b64 s[4:5], -1, 0
	s_and_b64 vcc, exec, s[4:5]
	s_cbranch_vccnz .LBB3_9
; %bb.4:
	s_bitcmp0_b32 s12, 0
	s_cbranch_scc0 .LBB3_6
; %bb.5:
	v_mbcnt_lo_u32_b32 v4, -1, 0
	v_mbcnt_hi_u32_b32 v4, -1, v4
	v_and_b32_e32 v5, 0x60, v4
	v_add_u32_e32 v5, 32, v5
	v_xor_b32_e32 v6, 16, v4
	v_cmp_lt_i32_e32 vcc, v6, v5
	s_waitcnt vmcnt(0)
	v_max_f32_e32 v1, v0, v0
	v_cndmask_b32_e32 v6, v4, v6, vcc
	v_max_f32_e32 v1, 0xff800000, v1
	v_lshlrev_b32_e32 v6, 2, v6
	ds_bpermute_b32 v7, v6, v1
	s_mov_b32 s2, 0x3fb8aa3b
	s_waitcnt lgkmcnt(0)
	v_max_f32_e32 v7, v7, v7
	v_max_f32_e32 v1, v1, v7
	v_xor_b32_e32 v7, 8, v4
	v_cmp_lt_i32_e32 vcc, v7, v5
	v_cndmask_b32_e32 v7, v4, v7, vcc
	v_lshlrev_b32_e32 v7, 2, v7
	ds_bpermute_b32 v8, v7, v1
	s_waitcnt lgkmcnt(0)
	v_max_f32_e32 v8, v8, v8
	v_max_f32_e32 v1, v1, v8
	v_xor_b32_e32 v8, 4, v4
	v_cmp_lt_i32_e32 vcc, v8, v5
	v_cndmask_b32_e32 v8, v4, v8, vcc
	v_lshlrev_b32_e32 v8, 2, v8
	ds_bpermute_b32 v12, v8, v1
	;; [unrolled: 8-line block ×4, first 2 shown]
	s_waitcnt lgkmcnt(0)
	v_max_f32_e32 v5, v5, v5
	v_max_f32_e32 v1, v1, v5
	v_sub_f32_e32 v1, v0, v1
	v_mul_f32_e32 v5, 0x3fb8aa3b, v1
	v_fma_f32 v13, v1, s2, -v5
	v_rndne_f32_e32 v14, v5
	v_fmac_f32_e32 v13, 0x32a5705f, v1
	v_sub_f32_e32 v5, v5, v14
	v_add_f32_e32 v5, v5, v13
	v_exp_f32_e32 v5, v5
	v_cvt_i32_f32_e32 v13, v14
	s_mov_b32 s2, 0xc2ce8ed0
	v_cmp_ngt_f32_e32 vcc, s2, v1
	s_mov_b32 s2, 0x42b17218
	v_ldexp_f32 v5, v5, v13
	v_cndmask_b32_e32 v5, 0, v5, vcc
	v_mov_b32_e32 v13, 0x7f800000
	v_cmp_nlt_f32_e32 vcc, s2, v1
	v_cndmask_b32_e32 v1, v13, v5, vcc
	ds_bpermute_b32 v5, v6, v1
	s_waitcnt lgkmcnt(0)
	v_add_f32_e32 v5, v1, v5
	ds_bpermute_b32 v6, v7, v5
	s_waitcnt lgkmcnt(0)
	v_add_f32_e32 v5, v5, v6
	;; [unrolled: 3-line block ×5, first 2 shown]
	v_div_scale_f32 v5, s[2:3], v4, v4, 1.0
	v_rcp_f32_e32 v6, v5
	v_div_scale_f32 v7, vcc, 1.0, v4, 1.0
	v_fma_f32 v8, -v5, v6, 1.0
	v_fmac_f32_e32 v6, v8, v6
	v_mul_f32_e32 v8, v7, v6
	v_fma_f32 v12, -v5, v8, v7
	v_fmac_f32_e32 v8, v12, v6
	v_fma_f32 v5, -v5, v8, v7
	v_div_fmas_f32 v5, v5, v6, v8
	v_div_fixup_f32 v4, v5, v4, 1.0
	v_mul_f32_e32 v1, v1, v4
	s_cbranch_execz .LBB3_7
	s_branch .LBB3_8
.LBB3_6:
                                        ; implicit-def: $vgpr1
.LBB3_7:
	s_waitcnt vmcnt(0)
	v_mul_f32_e32 v1, 0xbfb8aa3b, v0
	s_mov_b32 s2, 0xbfb8aa3b
	v_rndne_f32_e32 v4, v1
	v_sub_f32_e32 v5, v1, v4
	v_fma_f32 v1, v0, s2, -v1
	v_fmac_f32_e32 v1, 0xb2a5705f, v0
	v_add_f32_e32 v1, v5, v1
	v_exp_f32_e32 v1, v1
	v_cvt_i32_f32_e32 v4, v4
	s_mov_b32 s2, 0x42ce8ed0
	v_cmp_nlt_f32_e32 vcc, s2, v0
	s_mov_b32 s2, 0xc2b17218
	v_ldexp_f32 v1, v1, v4
	v_cndmask_b32_e32 v1, 0, v1, vcc
	v_mov_b32_e32 v4, 0x7f800000
	v_cmp_ngt_f32_e32 vcc, s2, v0
	v_cndmask_b32_e32 v0, v4, v1, vcc
	v_add_f32_e32 v0, 1.0, v0
	v_div_scale_f32 v1, s[2:3], v0, v0, 1.0
	v_rcp_f32_e32 v4, v1
	v_fma_f32 v5, -v1, v4, 1.0
	v_fmac_f32_e32 v4, v5, v4
	v_div_scale_f32 v5, vcc, 1.0, v0, 1.0
	v_mul_f32_e32 v6, v5, v4
	v_fma_f32 v7, -v1, v6, v5
	v_fmac_f32_e32 v6, v7, v4
	v_fma_f32 v1, -v1, v6, v5
	v_div_fmas_f32 v1, v1, v4, v6
	v_div_fixup_f32 v1, v1, v0, 1.0
.LBB3_8:
	s_waitcnt vmcnt(0)
	v_mov_b32_e32 v0, v1
.LBB3_9:
	v_mov_b32_e32 v1, 0xff7fffff
	s_waitcnt vmcnt(0)
	v_cmp_o_f32_e32 vcc, v0, v0
	v_cndmask_b32_e32 v0, v1, v0, vcc
	v_mov_b32_e32 v1, 0xff800000
	s_and_saveexec_b64 s[2:3], s[0:1]
	s_cbranch_execz .LBB3_11
; %bb.10:
	global_load_dword v1, v10, s[10:11]
	s_waitcnt vmcnt(0)
	v_add_f32_e32 v1, v0, v1
.LBB3_11:
	s_or_b64 exec, exec, s[2:3]
	s_lshr_b32 s2, s12, 8
	s_cmp_gt_i32 s13, 0
	s_mov_b32 s3, 0
	s_cbranch_scc1 .LBB3_13
; %bb.12:
	s_bitcmp1_b32 s2, 0
	s_mov_b64 s[0:1], 0
	s_cselect_b64 s[10:11], -1, 0
	s_branch .LBB3_14
.LBB3_13:
	s_mov_b64 s[0:1], -1
                                        ; implicit-def: $sgpr3
                                        ; implicit-def: $sgpr10_sgpr11
.LBB3_14:
	s_andn2_b64 vcc, exec, s[0:1]
	v_mov_b32_e32 v14, s3
	v_mbcnt_lo_u32_b32 v13, -1, 0
	v_mov_b32_e32 v12, s3
	s_cbranch_vccnz .LBB3_33
; %bb.15:
	v_mov_b32_e32 v4, s9
	v_add_co_u32_e32 v2, vcc, s8, v2
	v_addc_co_u32_e32 v3, vcc, v4, v3, vcc
	v_mbcnt_hi_u32_b32 v4, -1, v13
	v_and_b32_e32 v5, 0x60, v4
	v_add_u32_e32 v5, 32, v5
	v_xor_b32_e32 v6, 16, v4
	v_cmp_lt_i32_e32 vcc, v6, v5
	v_cndmask_b32_e32 v6, v4, v6, vcc
	v_lshlrev_b32_e32 v15, 2, v6
	v_xor_b32_e32 v6, 8, v4
	v_cmp_lt_i32_e32 vcc, v6, v5
	v_cndmask_b32_e32 v6, v4, v6, vcc
	v_lshlrev_b32_e32 v16, 2, v6
	;; [unrolled: 4-line block ×4, first 2 shown]
	v_xor_b32_e32 v6, 1, v4
	v_cmp_lt_i32_e32 vcc, v6, v5
	s_bitcmp1_b32 s2, 0
	v_cndmask_b32_e32 v4, v4, v6, vcc
	s_mov_b32 s12, 0
	s_cselect_b64 s[10:11], -1, 0
	v_lshlrev_b32_e32 v19, 2, v4
	v_mov_b32_e32 v14, 0
	v_mov_b32_e32 v20, 0xff800000
	;; [unrolled: 1-line block ×3, first 2 shown]
	s_branch .LBB3_17
.LBB3_16:                               ;   in Loop: Header=BB3_17 Depth=1
	s_or_b64 exec, exec, s[0:1]
	s_and_b32 s0, s12, 31
	v_cndmask_b32_e32 v1, v1, v20, vcc
	v_cmp_eq_u32_e32 vcc, s0, v11
	v_cndmask_b32_e32 v12, v12, v4, vcc
	s_add_i32 s12, s12, 1
	v_add_co_u32_e32 v2, vcc, 4, v2
	s_cmp_eq_u32 s13, s12
	v_addc_co_u32_e32 v3, vcc, 0, v3, vcc
	s_cbranch_scc1 .LBB3_33
.LBB3_17:                               ; =>This Inner Loop Header: Depth=1
	ds_bpermute_b32 v7, v15, v1
	ds_bpermute_b32 v8, v15, v11
	;; [unrolled: 1-line block ×3, first 2 shown]
	v_mov_b32_e32 v21, v1
	v_mov_b32_e32 v23, v0
	s_waitcnt lgkmcnt(2)
	v_cmp_eq_f32_e64 s[0:1], v1, v7
	s_waitcnt lgkmcnt(1)
	v_cmp_lt_i32_e64 s[2:3], v8, v11
	v_cmp_lt_f32_e32 vcc, v1, v7
	s_and_b64 s[0:1], s[0:1], s[2:3]
	s_or_b64 s[2:3], vcc, s[0:1]
	v_mov_b32_e32 v22, v11
	v_pk_mov_b32 v[4:5], v[0:1], v[0:1] op_sel:[0,1]
	s_and_saveexec_b64 s[0:1], s[2:3]
	s_cbranch_execz .LBB3_19
; %bb.18:                               ;   in Loop: Header=BB3_17 Depth=1
	v_mov_b32_e32 v21, v7
	s_waitcnt lgkmcnt(0)
	v_mov_b32_e32 v23, v6
	v_mov_b32_e32 v22, v8
	v_pk_mov_b32 v[4:5], v[6:7], v[6:7] op_sel:[0,1]
.LBB3_19:                               ;   in Loop: Header=BB3_17 Depth=1
	s_or_b64 exec, exec, s[0:1]
	ds_bpermute_b32 v25, v16, v21
	ds_bpermute_b32 v8, v16, v23
	;; [unrolled: 1-line block ×3, first 2 shown]
	s_waitcnt lgkmcnt(2)
	v_cmp_lt_f32_e64 s[2:3], v5, v25
	v_cmp_nlt_f32_e32 vcc, v5, v25
	s_and_saveexec_b64 s[8:9], vcc
	s_cbranch_execz .LBB3_21
; %bb.20:                               ;   in Loop: Header=BB3_17 Depth=1
	v_cmp_eq_f32_e32 vcc, v5, v25
	s_waitcnt lgkmcnt(0)
	v_cmp_lt_i32_e64 s[0:1], v24, v22
	s_and_b64 s[0:1], vcc, s[0:1]
	s_andn2_b64 s[2:3], s[2:3], exec
	s_and_b64 s[0:1], s[0:1], exec
	s_or_b64 s[2:3], s[2:3], s[0:1]
.LBB3_21:                               ;   in Loop: Header=BB3_17 Depth=1
	s_or_b64 exec, exec, s[8:9]
	v_pk_mov_b32 v[6:7], v[4:5], v[4:5] op_sel:[0,1]
	s_and_saveexec_b64 s[0:1], s[2:3]
	s_cbranch_execz .LBB3_23
; %bb.22:                               ;   in Loop: Header=BB3_17 Depth=1
	v_mov_b32_e32 v5, v25
	v_mov_b32_e32 v21, v25
	s_waitcnt lgkmcnt(1)
	v_mov_b32_e32 v23, v8
	s_waitcnt lgkmcnt(0)
	v_mov_b32_e32 v22, v24
	v_pk_mov_b32 v[6:7], v[8:9], v[8:9] op_sel:[0,1]
.LBB3_23:                               ;   in Loop: Header=BB3_17 Depth=1
	s_or_b64 exec, exec, s[0:1]
	s_waitcnt lgkmcnt(1)
	ds_bpermute_b32 v8, v17, v21
	ds_bpermute_b32 v4, v17, v23
	;; [unrolled: 1-line block ×3, first 2 shown]
	s_waitcnt lgkmcnt(2)
	v_cmp_lt_f32_e64 s[2:3], v5, v8
	v_cmp_nlt_f32_e32 vcc, v5, v8
	s_and_saveexec_b64 s[8:9], vcc
	s_cbranch_execz .LBB3_25
; %bb.24:                               ;   in Loop: Header=BB3_17 Depth=1
	v_cmp_eq_f32_e32 vcc, v5, v8
	s_waitcnt lgkmcnt(0)
	v_cmp_lt_i32_e64 s[0:1], v7, v22
	s_and_b64 s[0:1], vcc, s[0:1]
	s_andn2_b64 s[2:3], s[2:3], exec
	s_and_b64 s[0:1], s[0:1], exec
	s_or_b64 s[2:3], s[2:3], s[0:1]
.LBB3_25:                               ;   in Loop: Header=BB3_17 Depth=1
	s_or_b64 exec, exec, s[8:9]
	s_and_saveexec_b64 s[0:1], s[2:3]
	s_cbranch_execz .LBB3_27
; %bb.26:                               ;   in Loop: Header=BB3_17 Depth=1
	v_mov_b32_e32 v5, v8
	v_mov_b32_e32 v21, v8
	s_waitcnt lgkmcnt(1)
	v_mov_b32_e32 v23, v4
	s_waitcnt lgkmcnt(0)
	v_mov_b32_e32 v22, v7
	v_pk_mov_b32 v[6:7], v[4:5], v[4:5] op_sel:[0,1]
.LBB3_27:                               ;   in Loop: Header=BB3_17 Depth=1
	s_or_b64 exec, exec, s[0:1]
	ds_bpermute_b32 v8, v18, v21
	s_waitcnt lgkmcnt(2)
	ds_bpermute_b32 v4, v18, v23
	s_waitcnt lgkmcnt(2)
	;; [unrolled: 2-line block ×3, first 2 shown]
	v_cmp_lt_f32_e64 s[2:3], v5, v8
	v_cmp_nlt_f32_e32 vcc, v5, v8
	s_and_saveexec_b64 s[8:9], vcc
	s_cbranch_execz .LBB3_29
; %bb.28:                               ;   in Loop: Header=BB3_17 Depth=1
	v_cmp_eq_f32_e32 vcc, v5, v8
	s_waitcnt lgkmcnt(0)
	v_cmp_lt_i32_e64 s[0:1], v7, v22
	s_and_b64 s[0:1], vcc, s[0:1]
	s_andn2_b64 s[2:3], s[2:3], exec
	s_and_b64 s[0:1], s[0:1], exec
	s_or_b64 s[2:3], s[2:3], s[0:1]
.LBB3_29:                               ;   in Loop: Header=BB3_17 Depth=1
	s_or_b64 exec, exec, s[8:9]
	s_and_saveexec_b64 s[0:1], s[2:3]
	s_cbranch_execz .LBB3_31
; %bb.30:                               ;   in Loop: Header=BB3_17 Depth=1
	v_mov_b32_e32 v5, v8
	v_mov_b32_e32 v21, v8
	s_waitcnt lgkmcnt(1)
	v_mov_b32_e32 v23, v4
	s_waitcnt lgkmcnt(0)
	v_mov_b32_e32 v22, v7
	v_pk_mov_b32 v[6:7], v[4:5], v[4:5] op_sel:[0,1]
.LBB3_31:                               ;   in Loop: Header=BB3_17 Depth=1
	s_or_b64 exec, exec, s[0:1]
	s_waitcnt lgkmcnt(1)
	ds_bpermute_b32 v4, v19, v21
	s_waitcnt lgkmcnt(1)
	ds_bpermute_b32 v7, v19, v22
	ds_bpermute_b32 v8, v19, v23
	s_waitcnt lgkmcnt(2)
	v_cmp_eq_f32_e64 s[0:1], v5, v4
	s_waitcnt lgkmcnt(1)
	v_cmp_lt_i32_e64 s[2:3], v7, v22
	v_cmp_lt_f32_e32 vcc, v5, v4
	s_and_b64 s[0:1], s[0:1], s[2:3]
	s_or_b64 vcc, vcc, s[0:1]
	v_cndmask_b32_e32 v5, v22, v7, vcc
	s_waitcnt lgkmcnt(0)
	v_cndmask_b32_e32 v4, v6, v8, vcc
	v_and_b32_e32 v6, 31, v5
	v_cmp_eq_u32_e32 vcc, v6, v11
	s_and_saveexec_b64 s[0:1], vcc
	s_cbranch_execz .LBB3_16
; %bb.32:                               ;   in Loop: Header=BB3_17 Depth=1
	v_add_f32_e32 v6, v14, v4
	v_cndmask_b32_e64 v14, v14, v6, s[10:11]
	global_store_dword v[2:3], v5, off
	s_branch .LBB3_16
.LBB3_33:
	s_and_b64 vcc, exec, s[10:11]
	s_cbranch_vccnz .LBB3_38
; %bb.34:
	s_andn2_b64 vcc, exec, s[4:5]
	v_cmp_gt_i32_e64 s[0:1], s13, v11
	s_cbranch_vccz .LBB3_39
.LBB3_35:
	v_cmp_gt_i32_e32 vcc, s13, v11
	s_and_b64 exec, exec, vcc
	s_cbranch_execz .LBB3_37
.LBB3_36:
	v_mul_lo_u32 v0, v9, s13
	v_ashrrev_i32_e32 v1, 31, v0
	v_lshlrev_b64 v[0:1], 2, v[0:1]
	s_waitcnt lgkmcnt(0)
	v_mov_b32_e32 v2, s7
	v_add_co_u32_e32 v0, vcc, s6, v0
	v_addc_co_u32_e32 v1, vcc, v2, v1, vcc
	v_add_co_u32_e32 v0, vcc, v0, v10
	v_addc_co_u32_e32 v1, vcc, 0, v1, vcc
	v_mul_f32_e32 v2, s15, v12
	global_store_dword v[0:1], v2, off
.LBB3_37:
	s_endpgm
.LBB3_38:
	v_mbcnt_hi_u32_b32 v0, -1, v13
	v_and_b32_e32 v1, 0x60, v0
	v_add_u32_e32 v1, 32, v1
	v_xor_b32_e32 v2, 16, v0
	v_cmp_lt_i32_e32 vcc, v2, v1
	v_cndmask_b32_e32 v2, v0, v2, vcc
	v_lshlrev_b32_e32 v2, 2, v2
	ds_bpermute_b32 v2, v2, v14
	v_xor_b32_e32 v3, 8, v0
	v_cmp_lt_i32_e32 vcc, v3, v1
	v_cndmask_b32_e32 v3, v0, v3, vcc
	v_lshlrev_b32_e32 v3, 2, v3
	s_waitcnt lgkmcnt(0)
	v_add_f32_e32 v2, v14, v2
	ds_bpermute_b32 v3, v3, v2
	v_xor_b32_e32 v4, 4, v0
	v_cmp_lt_i32_e32 vcc, v4, v1
	s_waitcnt lgkmcnt(0)
	v_add_f32_e32 v2, v2, v3
	v_cndmask_b32_e32 v3, v0, v4, vcc
	v_lshlrev_b32_e32 v3, 2, v3
	ds_bpermute_b32 v3, v3, v2
	v_xor_b32_e32 v4, 2, v0
	v_cmp_lt_i32_e32 vcc, v4, v1
	s_waitcnt lgkmcnt(0)
	v_add_f32_e32 v2, v2, v3
	v_cndmask_b32_e32 v3, v0, v4, vcc
	v_lshlrev_b32_e32 v3, 2, v3
	ds_bpermute_b32 v3, v3, v2
	v_xor_b32_e32 v4, 1, v0
	v_cmp_lt_i32_e32 vcc, v4, v1
	v_cndmask_b32_e32 v0, v0, v4, vcc
	v_lshlrev_b32_e32 v0, 2, v0
	s_waitcnt lgkmcnt(0)
	v_add_f32_e32 v2, v2, v3
	ds_bpermute_b32 v0, v0, v2
	v_max_f32_e64 v1, s14, s14
	s_waitcnt lgkmcnt(0)
	v_add_f32_e32 v0, v2, v0
	v_max_f32_e32 v0, v0, v1
	v_div_scale_f32 v1, s[0:1], v0, v0, 1.0
	v_rcp_f32_e32 v2, v1
	v_div_scale_f32 v3, vcc, 1.0, v0, 1.0
	v_fma_f32 v4, -v1, v2, 1.0
	v_fmac_f32_e32 v2, v4, v2
	v_mul_f32_e32 v4, v3, v2
	v_fma_f32 v5, -v1, v4, v3
	v_fmac_f32_e32 v4, v5, v2
	v_fma_f32 v1, -v1, v4, v3
	v_div_fmas_f32 v1, v1, v2, v4
	v_div_fixup_f32 v0, v1, v0, 1.0
	v_mul_f32_e32 v12, v12, v0
	s_andn2_b64 vcc, exec, s[4:5]
	v_cmp_gt_i32_e64 s[0:1], s13, v11
	s_cbranch_vccnz .LBB3_35
.LBB3_39:
	v_max_f32_e32 v0, v12, v12
	v_max_f32_e32 v0, 0xff800000, v0
	v_mov_b32_e32 v1, 0xff800000
	v_cndmask_b32_e64 v0, v1, v0, s[0:1]
	v_mbcnt_hi_u32_b32 v1, -1, v13
	v_and_b32_e32 v2, 0x60, v1
	v_add_u32_e32 v2, 32, v2
	v_xor_b32_e32 v3, 16, v1
	v_cmp_lt_i32_e32 vcc, v3, v2
	v_cndmask_b32_e32 v3, v1, v3, vcc
	v_lshlrev_b32_e32 v3, 2, v3
	ds_bpermute_b32 v4, v3, v0
	s_mov_b32 s2, 0x3fb8aa3b
	s_waitcnt lgkmcnt(0)
	v_max_f32_e32 v4, v4, v4
	v_max_f32_e32 v0, v0, v4
	v_xor_b32_e32 v4, 8, v1
	v_cmp_lt_i32_e32 vcc, v4, v2
	v_cndmask_b32_e32 v4, v1, v4, vcc
	v_lshlrev_b32_e32 v4, 2, v4
	ds_bpermute_b32 v5, v4, v0
	s_waitcnt lgkmcnt(0)
	v_max_f32_e32 v5, v5, v5
	v_max_f32_e32 v0, v0, v5
	v_xor_b32_e32 v5, 4, v1
	v_cmp_lt_i32_e32 vcc, v5, v2
	v_cndmask_b32_e32 v5, v1, v5, vcc
	v_lshlrev_b32_e32 v5, 2, v5
	ds_bpermute_b32 v6, v5, v0
	;; [unrolled: 8-line block ×4, first 2 shown]
	s_waitcnt lgkmcnt(0)
	v_max_f32_e32 v1, v1, v1
	v_max_f32_e32 v0, v0, v1
	v_sub_f32_e32 v0, v12, v0
	v_mul_f32_e32 v1, 0x3fb8aa3b, v0
	v_fma_f32 v7, v0, s2, -v1
	v_rndne_f32_e32 v8, v1
	v_fmac_f32_e32 v7, 0x32a5705f, v0
	v_sub_f32_e32 v1, v1, v8
	v_add_f32_e32 v1, v1, v7
	v_exp_f32_e32 v1, v1
	v_cvt_i32_f32_e32 v7, v8
	s_mov_b32 s2, 0xc2ce8ed0
	v_cmp_ngt_f32_e32 vcc, s2, v0
	s_mov_b32 s2, 0x42b17218
	v_ldexp_f32 v1, v1, v7
	v_cndmask_b32_e32 v1, 0, v1, vcc
	v_mov_b32_e32 v7, 0x7f800000
	v_cmp_nlt_f32_e32 vcc, s2, v0
	v_cndmask_b32_e32 v0, v7, v1, vcc
	v_cndmask_b32_e64 v1, 0, v0, s[0:1]
	ds_bpermute_b32 v3, v3, v1
	v_mov_b32_e32 v12, 0
	s_waitcnt lgkmcnt(0)
	v_add_f32_e32 v1, v1, v3
	ds_bpermute_b32 v3, v4, v1
	s_waitcnt lgkmcnt(0)
	v_add_f32_e32 v1, v1, v3
	ds_bpermute_b32 v3, v5, v1
	;; [unrolled: 3-line block ×4, first 2 shown]
	s_and_saveexec_b64 s[2:3], s[0:1]
	s_cbranch_execz .LBB3_41
; %bb.40:
	s_waitcnt lgkmcnt(0)
	v_add_f32_e32 v1, v1, v2
	v_div_scale_f32 v2, s[0:1], v1, v1, 1.0
	v_rcp_f32_e32 v3, v2
	v_div_scale_f32 v4, vcc, 1.0, v1, 1.0
	v_fma_f32 v5, -v2, v3, 1.0
	v_fmac_f32_e32 v3, v5, v3
	v_mul_f32_e32 v5, v4, v3
	v_fma_f32 v6, -v2, v5, v4
	v_fmac_f32_e32 v5, v6, v3
	v_fma_f32 v2, -v2, v5, v4
	v_div_fmas_f32 v2, v2, v3, v5
	v_div_fixup_f32 v1, v2, v1, 1.0
	v_mul_f32_e32 v12, v0, v1
.LBB3_41:
	s_or_b64 exec, exec, s[2:3]
	v_cmp_gt_i32_e32 vcc, s13, v11
	s_and_b64 exec, exec, vcc
	s_cbranch_execnz .LBB3_36
	s_branch .LBB3_37
	.section	.rodata,"a",@progbits
	.p2align	6, 0x0
	.amdhsa_kernel _Z13topk_moe_cudaILi8ELb1EEvPKfPfPiS2_iiff15topk_moe_config
		.amdhsa_group_segment_fixed_size 0
		.amdhsa_private_segment_fixed_size 0
		.amdhsa_kernarg_size 312
		.amdhsa_user_sgpr_count 6
		.amdhsa_user_sgpr_private_segment_buffer 1
		.amdhsa_user_sgpr_dispatch_ptr 0
		.amdhsa_user_sgpr_queue_ptr 0
		.amdhsa_user_sgpr_kernarg_segment_ptr 1
		.amdhsa_user_sgpr_dispatch_id 0
		.amdhsa_user_sgpr_flat_scratch_init 0
		.amdhsa_user_sgpr_kernarg_preload_length 0
		.amdhsa_user_sgpr_kernarg_preload_offset 0
		.amdhsa_user_sgpr_private_segment_size 0
		.amdhsa_uses_dynamic_stack 0
		.amdhsa_system_sgpr_private_segment_wavefront_offset 0
		.amdhsa_system_sgpr_workgroup_id_x 1
		.amdhsa_system_sgpr_workgroup_id_y 0
		.amdhsa_system_sgpr_workgroup_id_z 0
		.amdhsa_system_sgpr_workgroup_info 0
		.amdhsa_system_vgpr_workitem_id 1
		.amdhsa_next_free_vgpr 26
		.amdhsa_next_free_sgpr 16
		.amdhsa_accum_offset 28
		.amdhsa_reserve_vcc 1
		.amdhsa_reserve_flat_scratch 0
		.amdhsa_float_round_mode_32 0
		.amdhsa_float_round_mode_16_64 0
		.amdhsa_float_denorm_mode_32 3
		.amdhsa_float_denorm_mode_16_64 3
		.amdhsa_dx10_clamp 1
		.amdhsa_ieee_mode 1
		.amdhsa_fp16_overflow 0
		.amdhsa_tg_split 0
		.amdhsa_exception_fp_ieee_invalid_op 0
		.amdhsa_exception_fp_denorm_src 0
		.amdhsa_exception_fp_ieee_div_zero 0
		.amdhsa_exception_fp_ieee_overflow 0
		.amdhsa_exception_fp_ieee_underflow 0
		.amdhsa_exception_fp_ieee_inexact 0
		.amdhsa_exception_int_div_zero 0
	.end_amdhsa_kernel
	.section	.text._Z13topk_moe_cudaILi8ELb1EEvPKfPfPiS2_iiff15topk_moe_config,"axG",@progbits,_Z13topk_moe_cudaILi8ELb1EEvPKfPfPiS2_iiff15topk_moe_config,comdat
.Lfunc_end3:
	.size	_Z13topk_moe_cudaILi8ELb1EEvPKfPfPiS2_iiff15topk_moe_config, .Lfunc_end3-_Z13topk_moe_cudaILi8ELb1EEvPKfPfPiS2_iiff15topk_moe_config
                                        ; -- End function
	.section	.AMDGPU.csdata,"",@progbits
; Kernel info:
; codeLenInByte = 2776
; NumSgprs: 20
; NumVgprs: 26
; NumAgprs: 0
; TotalNumVgprs: 26
; ScratchSize: 0
; MemoryBound: 0
; FloatMode: 240
; IeeeMode: 1
; LDSByteSize: 0 bytes/workgroup (compile time only)
; SGPRBlocks: 2
; VGPRBlocks: 3
; NumSGPRsForWavesPerEU: 20
; NumVGPRsForWavesPerEU: 26
; AccumOffset: 28
; Occupancy: 8
; WaveLimiterHint : 0
; COMPUTE_PGM_RSRC2:SCRATCH_EN: 0
; COMPUTE_PGM_RSRC2:USER_SGPR: 6
; COMPUTE_PGM_RSRC2:TRAP_HANDLER: 0
; COMPUTE_PGM_RSRC2:TGID_X_EN: 1
; COMPUTE_PGM_RSRC2:TGID_Y_EN: 0
; COMPUTE_PGM_RSRC2:TGID_Z_EN: 0
; COMPUTE_PGM_RSRC2:TIDIG_COMP_CNT: 1
; COMPUTE_PGM_RSRC3_GFX90A:ACCUM_OFFSET: 6
; COMPUTE_PGM_RSRC3_GFX90A:TG_SPLIT: 0
	.section	.text._Z13topk_moe_cudaILi16ELb1EEvPKfPfPiS2_iiff15topk_moe_config,"axG",@progbits,_Z13topk_moe_cudaILi16ELb1EEvPKfPfPiS2_iiff15topk_moe_config,comdat
	.protected	_Z13topk_moe_cudaILi16ELb1EEvPKfPfPiS2_iiff15topk_moe_config ; -- Begin function _Z13topk_moe_cudaILi16ELb1EEvPKfPfPiS2_iiff15topk_moe_config
	.globl	_Z13topk_moe_cudaILi16ELb1EEvPKfPfPiS2_iiff15topk_moe_config
	.p2align	8
	.type	_Z13topk_moe_cudaILi16ELb1EEvPKfPfPiS2_iiff15topk_moe_config,@function
_Z13topk_moe_cudaILi16ELb1EEvPKfPfPiS2_iiff15topk_moe_config: ; @_Z13topk_moe_cudaILi16ELb1EEvPKfPfPiS2_iiff15topk_moe_config
; %bb.0:
	s_load_dword s0, s[4:5], 0x44
	s_load_dwordx4 s[12:15], s[4:5], 0x20
	v_bfe_u32 v1, v0, 10, 10
	s_waitcnt lgkmcnt(0)
	s_lshr_b32 s0, s0, 16
	s_mul_i32 s6, s6, s0
	v_add_u32_e32 v9, s6, v1
	v_cmp_gt_i32_e32 vcc, s12, v9
	s_and_saveexec_b64 s[0:1], vcc
	s_cbranch_execz .LBB4_37
; %bb.1:
	v_mov_b32_e32 v1, 0
	global_load_ushort v4, v1, s[4:5] offset:48
	global_load_ubyte v5, v1, s[4:5] offset:50
	v_mov_b32_e32 v1, 8
	s_load_dwordx8 s[4:11], s[4:5], 0x0
	v_lshlrev_b32_e32 v2, 4, v9
	v_and_b32_e32 v11, 0x3ff, v0
	v_ashrrev_i32_e32 v3, 31, v2
	v_mov_b32_e32 v0, 0xff800000
	v_cmp_gt_u32_e64 s[0:1], 16, v11
	v_lshlrev_b64 v[2:3], 2, v[2:3]
	v_lshlrev_b32_e32 v10, 2, v11
	s_waitcnt vmcnt(1)
	v_lshrrev_b32_sdwa v1, v1, v4 dst_sel:BYTE_1 dst_unused:UNUSED_PAD src0_sel:DWORD src1_sel:DWORD
	v_or_b32_sdwa v1, v4, v1 dst_sel:DWORD dst_unused:UNUSED_PAD src0_sel:BYTE_0 src1_sel:DWORD
	s_waitcnt vmcnt(0)
	v_readfirstlane_b32 s2, v5
	v_readfirstlane_b32 s3, v1
	s_lshl_b32 s2, s2, 16
	s_and_b32 s3, 0xffff, s3
	s_or_b32 s12, s3, s2
	s_and_saveexec_b64 s[2:3], s[0:1]
	s_cbranch_execz .LBB4_3
; %bb.2:
	s_waitcnt lgkmcnt(0)
	v_mov_b32_e32 v0, s5
	v_add_co_u32_e32 v1, vcc, s4, v2
	v_addc_co_u32_e32 v4, vcc, v0, v3, vcc
	v_add_co_u32_e32 v0, vcc, v1, v10
	v_addc_co_u32_e32 v1, vcc, 0, v4, vcc
	global_load_dword v0, v[0:1], off
.LBB4_3:
	s_or_b64 exec, exec, s[2:3]
	s_bitcmp1_b32 s12, 16
	s_waitcnt lgkmcnt(0)
	s_cselect_b64 s[4:5], -1, 0
	s_and_b64 vcc, exec, s[4:5]
	s_cbranch_vccnz .LBB4_9
; %bb.4:
	s_bitcmp0_b32 s12, 0
	s_cbranch_scc0 .LBB4_6
; %bb.5:
	v_mbcnt_lo_u32_b32 v4, -1, 0
	v_mbcnt_hi_u32_b32 v4, -1, v4
	v_and_b32_e32 v5, 0x60, v4
	v_add_u32_e32 v5, 32, v5
	v_xor_b32_e32 v6, 16, v4
	v_cmp_lt_i32_e32 vcc, v6, v5
	s_waitcnt vmcnt(0)
	v_max_f32_e32 v1, v0, v0
	v_cndmask_b32_e32 v6, v4, v6, vcc
	v_max_f32_e32 v1, 0xff800000, v1
	v_lshlrev_b32_e32 v6, 2, v6
	ds_bpermute_b32 v7, v6, v1
	s_mov_b32 s2, 0x3fb8aa3b
	s_waitcnt lgkmcnt(0)
	v_max_f32_e32 v7, v7, v7
	v_max_f32_e32 v1, v1, v7
	v_xor_b32_e32 v7, 8, v4
	v_cmp_lt_i32_e32 vcc, v7, v5
	v_cndmask_b32_e32 v7, v4, v7, vcc
	v_lshlrev_b32_e32 v7, 2, v7
	ds_bpermute_b32 v8, v7, v1
	s_waitcnt lgkmcnt(0)
	v_max_f32_e32 v8, v8, v8
	v_max_f32_e32 v1, v1, v8
	v_xor_b32_e32 v8, 4, v4
	v_cmp_lt_i32_e32 vcc, v8, v5
	v_cndmask_b32_e32 v8, v4, v8, vcc
	v_lshlrev_b32_e32 v8, 2, v8
	ds_bpermute_b32 v12, v8, v1
	s_waitcnt lgkmcnt(0)
	v_max_f32_e32 v12, v12, v12
	v_max_f32_e32 v1, v1, v12
	v_xor_b32_e32 v12, 2, v4
	v_cmp_lt_i32_e32 vcc, v12, v5
	v_cndmask_b32_e32 v12, v4, v12, vcc
	v_lshlrev_b32_e32 v12, 2, v12
	ds_bpermute_b32 v13, v12, v1
	s_waitcnt lgkmcnt(0)
	v_max_f32_e32 v13, v13, v13
	v_max_f32_e32 v1, v1, v13
	v_xor_b32_e32 v13, 1, v4
	v_cmp_lt_i32_e32 vcc, v13, v5
	v_cndmask_b32_e32 v4, v4, v13, vcc
	v_lshlrev_b32_e32 v4, 2, v4
	ds_bpermute_b32 v5, v4, v1
	s_waitcnt lgkmcnt(0)
	v_max_f32_e32 v5, v5, v5
	v_max_f32_e32 v1, v1, v5
	v_sub_f32_e32 v1, v0, v1
	v_mul_f32_e32 v5, 0x3fb8aa3b, v1
	v_fma_f32 v13, v1, s2, -v5
	v_rndne_f32_e32 v14, v5
	v_fmac_f32_e32 v13, 0x32a5705f, v1
	v_sub_f32_e32 v5, v5, v14
	v_add_f32_e32 v5, v5, v13
	v_exp_f32_e32 v5, v5
	v_cvt_i32_f32_e32 v13, v14
	s_mov_b32 s2, 0xc2ce8ed0
	v_cmp_ngt_f32_e32 vcc, s2, v1
	s_mov_b32 s2, 0x42b17218
	v_ldexp_f32 v5, v5, v13
	v_cndmask_b32_e32 v5, 0, v5, vcc
	v_mov_b32_e32 v13, 0x7f800000
	v_cmp_nlt_f32_e32 vcc, s2, v1
	v_cndmask_b32_e32 v1, v13, v5, vcc
	ds_bpermute_b32 v5, v6, v1
	s_waitcnt lgkmcnt(0)
	v_add_f32_e32 v5, v1, v5
	ds_bpermute_b32 v6, v7, v5
	s_waitcnt lgkmcnt(0)
	v_add_f32_e32 v5, v5, v6
	;; [unrolled: 3-line block ×5, first 2 shown]
	v_div_scale_f32 v5, s[2:3], v4, v4, 1.0
	v_rcp_f32_e32 v6, v5
	v_div_scale_f32 v7, vcc, 1.0, v4, 1.0
	v_fma_f32 v8, -v5, v6, 1.0
	v_fmac_f32_e32 v6, v8, v6
	v_mul_f32_e32 v8, v7, v6
	v_fma_f32 v12, -v5, v8, v7
	v_fmac_f32_e32 v8, v12, v6
	v_fma_f32 v5, -v5, v8, v7
	v_div_fmas_f32 v5, v5, v6, v8
	v_div_fixup_f32 v4, v5, v4, 1.0
	v_mul_f32_e32 v1, v1, v4
	s_cbranch_execz .LBB4_7
	s_branch .LBB4_8
.LBB4_6:
                                        ; implicit-def: $vgpr1
.LBB4_7:
	s_waitcnt vmcnt(0)
	v_mul_f32_e32 v1, 0xbfb8aa3b, v0
	s_mov_b32 s2, 0xbfb8aa3b
	v_rndne_f32_e32 v4, v1
	v_sub_f32_e32 v5, v1, v4
	v_fma_f32 v1, v0, s2, -v1
	v_fmac_f32_e32 v1, 0xb2a5705f, v0
	v_add_f32_e32 v1, v5, v1
	v_exp_f32_e32 v1, v1
	v_cvt_i32_f32_e32 v4, v4
	s_mov_b32 s2, 0x42ce8ed0
	v_cmp_nlt_f32_e32 vcc, s2, v0
	s_mov_b32 s2, 0xc2b17218
	v_ldexp_f32 v1, v1, v4
	v_cndmask_b32_e32 v1, 0, v1, vcc
	v_mov_b32_e32 v4, 0x7f800000
	v_cmp_ngt_f32_e32 vcc, s2, v0
	v_cndmask_b32_e32 v0, v4, v1, vcc
	v_add_f32_e32 v0, 1.0, v0
	v_div_scale_f32 v1, s[2:3], v0, v0, 1.0
	v_rcp_f32_e32 v4, v1
	v_fma_f32 v5, -v1, v4, 1.0
	v_fmac_f32_e32 v4, v5, v4
	v_div_scale_f32 v5, vcc, 1.0, v0, 1.0
	v_mul_f32_e32 v6, v5, v4
	v_fma_f32 v7, -v1, v6, v5
	v_fmac_f32_e32 v6, v7, v4
	v_fma_f32 v1, -v1, v6, v5
	v_div_fmas_f32 v1, v1, v4, v6
	v_div_fixup_f32 v1, v1, v0, 1.0
.LBB4_8:
	s_waitcnt vmcnt(0)
	v_mov_b32_e32 v0, v1
.LBB4_9:
	v_mov_b32_e32 v1, 0xff7fffff
	s_waitcnt vmcnt(0)
	v_cmp_o_f32_e32 vcc, v0, v0
	v_cndmask_b32_e32 v0, v1, v0, vcc
	v_mov_b32_e32 v1, 0xff800000
	s_and_saveexec_b64 s[2:3], s[0:1]
	s_cbranch_execz .LBB4_11
; %bb.10:
	global_load_dword v1, v10, s[10:11]
	s_waitcnt vmcnt(0)
	v_add_f32_e32 v1, v0, v1
.LBB4_11:
	s_or_b64 exec, exec, s[2:3]
	s_lshr_b32 s2, s12, 8
	s_cmp_gt_i32 s13, 0
	s_mov_b32 s3, 0
	s_cbranch_scc1 .LBB4_13
; %bb.12:
	s_bitcmp1_b32 s2, 0
	s_mov_b64 s[0:1], 0
	s_cselect_b64 s[10:11], -1, 0
	s_branch .LBB4_14
.LBB4_13:
	s_mov_b64 s[0:1], -1
                                        ; implicit-def: $sgpr3
                                        ; implicit-def: $sgpr10_sgpr11
.LBB4_14:
	s_andn2_b64 vcc, exec, s[0:1]
	v_mov_b32_e32 v14, s3
	v_mbcnt_lo_u32_b32 v13, -1, 0
	v_mov_b32_e32 v12, s3
	s_cbranch_vccnz .LBB4_33
; %bb.15:
	v_mov_b32_e32 v4, s9
	v_add_co_u32_e32 v2, vcc, s8, v2
	v_addc_co_u32_e32 v3, vcc, v4, v3, vcc
	v_mbcnt_hi_u32_b32 v4, -1, v13
	v_and_b32_e32 v5, 0x60, v4
	v_add_u32_e32 v5, 32, v5
	v_xor_b32_e32 v6, 16, v4
	v_cmp_lt_i32_e32 vcc, v6, v5
	v_cndmask_b32_e32 v6, v4, v6, vcc
	v_lshlrev_b32_e32 v15, 2, v6
	v_xor_b32_e32 v6, 8, v4
	v_cmp_lt_i32_e32 vcc, v6, v5
	v_cndmask_b32_e32 v6, v4, v6, vcc
	v_lshlrev_b32_e32 v16, 2, v6
	;; [unrolled: 4-line block ×4, first 2 shown]
	v_xor_b32_e32 v6, 1, v4
	v_cmp_lt_i32_e32 vcc, v6, v5
	s_bitcmp1_b32 s2, 0
	v_cndmask_b32_e32 v4, v4, v6, vcc
	s_mov_b32 s12, 0
	s_cselect_b64 s[10:11], -1, 0
	v_lshlrev_b32_e32 v19, 2, v4
	v_mov_b32_e32 v14, 0
	v_mov_b32_e32 v20, 0xff800000
	;; [unrolled: 1-line block ×3, first 2 shown]
	s_branch .LBB4_17
.LBB4_16:                               ;   in Loop: Header=BB4_17 Depth=1
	s_or_b64 exec, exec, s[0:1]
	s_and_b32 s0, s12, 31
	v_cndmask_b32_e32 v1, v1, v20, vcc
	v_cmp_eq_u32_e32 vcc, s0, v11
	v_cndmask_b32_e32 v12, v12, v4, vcc
	s_add_i32 s12, s12, 1
	v_add_co_u32_e32 v2, vcc, 4, v2
	s_cmp_eq_u32 s13, s12
	v_addc_co_u32_e32 v3, vcc, 0, v3, vcc
	s_cbranch_scc1 .LBB4_33
.LBB4_17:                               ; =>This Inner Loop Header: Depth=1
	ds_bpermute_b32 v7, v15, v1
	ds_bpermute_b32 v8, v15, v11
	;; [unrolled: 1-line block ×3, first 2 shown]
	v_mov_b32_e32 v21, v1
	v_mov_b32_e32 v23, v0
	s_waitcnt lgkmcnt(2)
	v_cmp_eq_f32_e64 s[0:1], v1, v7
	s_waitcnt lgkmcnt(1)
	v_cmp_lt_i32_e64 s[2:3], v8, v11
	v_cmp_lt_f32_e32 vcc, v1, v7
	s_and_b64 s[0:1], s[0:1], s[2:3]
	s_or_b64 s[2:3], vcc, s[0:1]
	v_mov_b32_e32 v22, v11
	v_pk_mov_b32 v[4:5], v[0:1], v[0:1] op_sel:[0,1]
	s_and_saveexec_b64 s[0:1], s[2:3]
	s_cbranch_execz .LBB4_19
; %bb.18:                               ;   in Loop: Header=BB4_17 Depth=1
	v_mov_b32_e32 v21, v7
	s_waitcnt lgkmcnt(0)
	v_mov_b32_e32 v23, v6
	v_mov_b32_e32 v22, v8
	v_pk_mov_b32 v[4:5], v[6:7], v[6:7] op_sel:[0,1]
.LBB4_19:                               ;   in Loop: Header=BB4_17 Depth=1
	s_or_b64 exec, exec, s[0:1]
	ds_bpermute_b32 v25, v16, v21
	ds_bpermute_b32 v8, v16, v23
	;; [unrolled: 1-line block ×3, first 2 shown]
	s_waitcnt lgkmcnt(2)
	v_cmp_lt_f32_e64 s[2:3], v5, v25
	v_cmp_nlt_f32_e32 vcc, v5, v25
	s_and_saveexec_b64 s[8:9], vcc
	s_cbranch_execz .LBB4_21
; %bb.20:                               ;   in Loop: Header=BB4_17 Depth=1
	v_cmp_eq_f32_e32 vcc, v5, v25
	s_waitcnt lgkmcnt(0)
	v_cmp_lt_i32_e64 s[0:1], v24, v22
	s_and_b64 s[0:1], vcc, s[0:1]
	s_andn2_b64 s[2:3], s[2:3], exec
	s_and_b64 s[0:1], s[0:1], exec
	s_or_b64 s[2:3], s[2:3], s[0:1]
.LBB4_21:                               ;   in Loop: Header=BB4_17 Depth=1
	s_or_b64 exec, exec, s[8:9]
	v_pk_mov_b32 v[6:7], v[4:5], v[4:5] op_sel:[0,1]
	s_and_saveexec_b64 s[0:1], s[2:3]
	s_cbranch_execz .LBB4_23
; %bb.22:                               ;   in Loop: Header=BB4_17 Depth=1
	v_mov_b32_e32 v5, v25
	v_mov_b32_e32 v21, v25
	s_waitcnt lgkmcnt(1)
	v_mov_b32_e32 v23, v8
	s_waitcnt lgkmcnt(0)
	v_mov_b32_e32 v22, v24
	v_pk_mov_b32 v[6:7], v[8:9], v[8:9] op_sel:[0,1]
.LBB4_23:                               ;   in Loop: Header=BB4_17 Depth=1
	s_or_b64 exec, exec, s[0:1]
	s_waitcnt lgkmcnt(1)
	ds_bpermute_b32 v8, v17, v21
	ds_bpermute_b32 v4, v17, v23
	;; [unrolled: 1-line block ×3, first 2 shown]
	s_waitcnt lgkmcnt(2)
	v_cmp_lt_f32_e64 s[2:3], v5, v8
	v_cmp_nlt_f32_e32 vcc, v5, v8
	s_and_saveexec_b64 s[8:9], vcc
	s_cbranch_execz .LBB4_25
; %bb.24:                               ;   in Loop: Header=BB4_17 Depth=1
	v_cmp_eq_f32_e32 vcc, v5, v8
	s_waitcnt lgkmcnt(0)
	v_cmp_lt_i32_e64 s[0:1], v7, v22
	s_and_b64 s[0:1], vcc, s[0:1]
	s_andn2_b64 s[2:3], s[2:3], exec
	s_and_b64 s[0:1], s[0:1], exec
	s_or_b64 s[2:3], s[2:3], s[0:1]
.LBB4_25:                               ;   in Loop: Header=BB4_17 Depth=1
	s_or_b64 exec, exec, s[8:9]
	s_and_saveexec_b64 s[0:1], s[2:3]
	s_cbranch_execz .LBB4_27
; %bb.26:                               ;   in Loop: Header=BB4_17 Depth=1
	v_mov_b32_e32 v5, v8
	v_mov_b32_e32 v21, v8
	s_waitcnt lgkmcnt(1)
	v_mov_b32_e32 v23, v4
	s_waitcnt lgkmcnt(0)
	v_mov_b32_e32 v22, v7
	v_pk_mov_b32 v[6:7], v[4:5], v[4:5] op_sel:[0,1]
.LBB4_27:                               ;   in Loop: Header=BB4_17 Depth=1
	s_or_b64 exec, exec, s[0:1]
	ds_bpermute_b32 v8, v18, v21
	s_waitcnt lgkmcnt(2)
	ds_bpermute_b32 v4, v18, v23
	s_waitcnt lgkmcnt(2)
	;; [unrolled: 2-line block ×3, first 2 shown]
	v_cmp_lt_f32_e64 s[2:3], v5, v8
	v_cmp_nlt_f32_e32 vcc, v5, v8
	s_and_saveexec_b64 s[8:9], vcc
	s_cbranch_execz .LBB4_29
; %bb.28:                               ;   in Loop: Header=BB4_17 Depth=1
	v_cmp_eq_f32_e32 vcc, v5, v8
	s_waitcnt lgkmcnt(0)
	v_cmp_lt_i32_e64 s[0:1], v7, v22
	s_and_b64 s[0:1], vcc, s[0:1]
	s_andn2_b64 s[2:3], s[2:3], exec
	s_and_b64 s[0:1], s[0:1], exec
	s_or_b64 s[2:3], s[2:3], s[0:1]
.LBB4_29:                               ;   in Loop: Header=BB4_17 Depth=1
	s_or_b64 exec, exec, s[8:9]
	s_and_saveexec_b64 s[0:1], s[2:3]
	s_cbranch_execz .LBB4_31
; %bb.30:                               ;   in Loop: Header=BB4_17 Depth=1
	v_mov_b32_e32 v5, v8
	v_mov_b32_e32 v21, v8
	s_waitcnt lgkmcnt(1)
	v_mov_b32_e32 v23, v4
	s_waitcnt lgkmcnt(0)
	v_mov_b32_e32 v22, v7
	v_pk_mov_b32 v[6:7], v[4:5], v[4:5] op_sel:[0,1]
.LBB4_31:                               ;   in Loop: Header=BB4_17 Depth=1
	s_or_b64 exec, exec, s[0:1]
	s_waitcnt lgkmcnt(1)
	ds_bpermute_b32 v4, v19, v21
	s_waitcnt lgkmcnt(1)
	ds_bpermute_b32 v7, v19, v22
	ds_bpermute_b32 v8, v19, v23
	s_waitcnt lgkmcnt(2)
	v_cmp_eq_f32_e64 s[0:1], v5, v4
	s_waitcnt lgkmcnt(1)
	v_cmp_lt_i32_e64 s[2:3], v7, v22
	v_cmp_lt_f32_e32 vcc, v5, v4
	s_and_b64 s[0:1], s[0:1], s[2:3]
	s_or_b64 vcc, vcc, s[0:1]
	v_cndmask_b32_e32 v5, v22, v7, vcc
	s_waitcnt lgkmcnt(0)
	v_cndmask_b32_e32 v4, v6, v8, vcc
	v_and_b32_e32 v6, 31, v5
	v_cmp_eq_u32_e32 vcc, v6, v11
	s_and_saveexec_b64 s[0:1], vcc
	s_cbranch_execz .LBB4_16
; %bb.32:                               ;   in Loop: Header=BB4_17 Depth=1
	v_add_f32_e32 v6, v14, v4
	v_cndmask_b32_e64 v14, v14, v6, s[10:11]
	global_store_dword v[2:3], v5, off
	s_branch .LBB4_16
.LBB4_33:
	s_and_b64 vcc, exec, s[10:11]
	s_cbranch_vccnz .LBB4_38
; %bb.34:
	s_andn2_b64 vcc, exec, s[4:5]
	v_cmp_gt_i32_e64 s[0:1], s13, v11
	s_cbranch_vccz .LBB4_39
.LBB4_35:
	v_cmp_gt_i32_e32 vcc, s13, v11
	s_and_b64 exec, exec, vcc
	s_cbranch_execz .LBB4_37
.LBB4_36:
	v_mul_lo_u32 v0, v9, s13
	v_ashrrev_i32_e32 v1, 31, v0
	v_lshlrev_b64 v[0:1], 2, v[0:1]
	s_waitcnt lgkmcnt(0)
	v_mov_b32_e32 v2, s7
	v_add_co_u32_e32 v0, vcc, s6, v0
	v_addc_co_u32_e32 v1, vcc, v2, v1, vcc
	v_add_co_u32_e32 v0, vcc, v0, v10
	v_addc_co_u32_e32 v1, vcc, 0, v1, vcc
	v_mul_f32_e32 v2, s15, v12
	global_store_dword v[0:1], v2, off
.LBB4_37:
	s_endpgm
.LBB4_38:
	v_mbcnt_hi_u32_b32 v0, -1, v13
	v_and_b32_e32 v1, 0x60, v0
	v_add_u32_e32 v1, 32, v1
	v_xor_b32_e32 v2, 16, v0
	v_cmp_lt_i32_e32 vcc, v2, v1
	v_cndmask_b32_e32 v2, v0, v2, vcc
	v_lshlrev_b32_e32 v2, 2, v2
	ds_bpermute_b32 v2, v2, v14
	v_xor_b32_e32 v3, 8, v0
	v_cmp_lt_i32_e32 vcc, v3, v1
	v_cndmask_b32_e32 v3, v0, v3, vcc
	v_lshlrev_b32_e32 v3, 2, v3
	s_waitcnt lgkmcnt(0)
	v_add_f32_e32 v2, v14, v2
	ds_bpermute_b32 v3, v3, v2
	v_xor_b32_e32 v4, 4, v0
	v_cmp_lt_i32_e32 vcc, v4, v1
	s_waitcnt lgkmcnt(0)
	v_add_f32_e32 v2, v2, v3
	v_cndmask_b32_e32 v3, v0, v4, vcc
	v_lshlrev_b32_e32 v3, 2, v3
	ds_bpermute_b32 v3, v3, v2
	v_xor_b32_e32 v4, 2, v0
	v_cmp_lt_i32_e32 vcc, v4, v1
	s_waitcnt lgkmcnt(0)
	v_add_f32_e32 v2, v2, v3
	v_cndmask_b32_e32 v3, v0, v4, vcc
	v_lshlrev_b32_e32 v3, 2, v3
	ds_bpermute_b32 v3, v3, v2
	v_xor_b32_e32 v4, 1, v0
	v_cmp_lt_i32_e32 vcc, v4, v1
	v_cndmask_b32_e32 v0, v0, v4, vcc
	v_lshlrev_b32_e32 v0, 2, v0
	s_waitcnt lgkmcnt(0)
	v_add_f32_e32 v2, v2, v3
	ds_bpermute_b32 v0, v0, v2
	v_max_f32_e64 v1, s14, s14
	s_waitcnt lgkmcnt(0)
	v_add_f32_e32 v0, v2, v0
	v_max_f32_e32 v0, v0, v1
	v_div_scale_f32 v1, s[0:1], v0, v0, 1.0
	v_rcp_f32_e32 v2, v1
	v_div_scale_f32 v3, vcc, 1.0, v0, 1.0
	v_fma_f32 v4, -v1, v2, 1.0
	v_fmac_f32_e32 v2, v4, v2
	v_mul_f32_e32 v4, v3, v2
	v_fma_f32 v5, -v1, v4, v3
	v_fmac_f32_e32 v4, v5, v2
	v_fma_f32 v1, -v1, v4, v3
	v_div_fmas_f32 v1, v1, v2, v4
	v_div_fixup_f32 v0, v1, v0, 1.0
	v_mul_f32_e32 v12, v12, v0
	s_andn2_b64 vcc, exec, s[4:5]
	v_cmp_gt_i32_e64 s[0:1], s13, v11
	s_cbranch_vccnz .LBB4_35
.LBB4_39:
	v_max_f32_e32 v0, v12, v12
	v_max_f32_e32 v0, 0xff800000, v0
	v_mov_b32_e32 v1, 0xff800000
	v_cndmask_b32_e64 v0, v1, v0, s[0:1]
	v_mbcnt_hi_u32_b32 v1, -1, v13
	v_and_b32_e32 v2, 0x60, v1
	v_add_u32_e32 v2, 32, v2
	v_xor_b32_e32 v3, 16, v1
	v_cmp_lt_i32_e32 vcc, v3, v2
	v_cndmask_b32_e32 v3, v1, v3, vcc
	v_lshlrev_b32_e32 v3, 2, v3
	ds_bpermute_b32 v4, v3, v0
	s_mov_b32 s2, 0x3fb8aa3b
	s_waitcnt lgkmcnt(0)
	v_max_f32_e32 v4, v4, v4
	v_max_f32_e32 v0, v0, v4
	v_xor_b32_e32 v4, 8, v1
	v_cmp_lt_i32_e32 vcc, v4, v2
	v_cndmask_b32_e32 v4, v1, v4, vcc
	v_lshlrev_b32_e32 v4, 2, v4
	ds_bpermute_b32 v5, v4, v0
	s_waitcnt lgkmcnt(0)
	v_max_f32_e32 v5, v5, v5
	v_max_f32_e32 v0, v0, v5
	v_xor_b32_e32 v5, 4, v1
	v_cmp_lt_i32_e32 vcc, v5, v2
	v_cndmask_b32_e32 v5, v1, v5, vcc
	v_lshlrev_b32_e32 v5, 2, v5
	ds_bpermute_b32 v6, v5, v0
	;; [unrolled: 8-line block ×4, first 2 shown]
	s_waitcnt lgkmcnt(0)
	v_max_f32_e32 v1, v1, v1
	v_max_f32_e32 v0, v0, v1
	v_sub_f32_e32 v0, v12, v0
	v_mul_f32_e32 v1, 0x3fb8aa3b, v0
	v_fma_f32 v7, v0, s2, -v1
	v_rndne_f32_e32 v8, v1
	v_fmac_f32_e32 v7, 0x32a5705f, v0
	v_sub_f32_e32 v1, v1, v8
	v_add_f32_e32 v1, v1, v7
	v_exp_f32_e32 v1, v1
	v_cvt_i32_f32_e32 v7, v8
	s_mov_b32 s2, 0xc2ce8ed0
	v_cmp_ngt_f32_e32 vcc, s2, v0
	s_mov_b32 s2, 0x42b17218
	v_ldexp_f32 v1, v1, v7
	v_cndmask_b32_e32 v1, 0, v1, vcc
	v_mov_b32_e32 v7, 0x7f800000
	v_cmp_nlt_f32_e32 vcc, s2, v0
	v_cndmask_b32_e32 v0, v7, v1, vcc
	v_cndmask_b32_e64 v1, 0, v0, s[0:1]
	ds_bpermute_b32 v3, v3, v1
	v_mov_b32_e32 v12, 0
	s_waitcnt lgkmcnt(0)
	v_add_f32_e32 v1, v1, v3
	ds_bpermute_b32 v3, v4, v1
	s_waitcnt lgkmcnt(0)
	v_add_f32_e32 v1, v1, v3
	ds_bpermute_b32 v3, v5, v1
	;; [unrolled: 3-line block ×4, first 2 shown]
	s_and_saveexec_b64 s[2:3], s[0:1]
	s_cbranch_execz .LBB4_41
; %bb.40:
	s_waitcnt lgkmcnt(0)
	v_add_f32_e32 v1, v1, v2
	v_div_scale_f32 v2, s[0:1], v1, v1, 1.0
	v_rcp_f32_e32 v3, v2
	v_div_scale_f32 v4, vcc, 1.0, v1, 1.0
	v_fma_f32 v5, -v2, v3, 1.0
	v_fmac_f32_e32 v3, v5, v3
	v_mul_f32_e32 v5, v4, v3
	v_fma_f32 v6, -v2, v5, v4
	v_fmac_f32_e32 v5, v6, v3
	v_fma_f32 v2, -v2, v5, v4
	v_div_fmas_f32 v2, v2, v3, v5
	v_div_fixup_f32 v1, v2, v1, 1.0
	v_mul_f32_e32 v12, v0, v1
.LBB4_41:
	s_or_b64 exec, exec, s[2:3]
	v_cmp_gt_i32_e32 vcc, s13, v11
	s_and_b64 exec, exec, vcc
	s_cbranch_execnz .LBB4_36
	s_branch .LBB4_37
	.section	.rodata,"a",@progbits
	.p2align	6, 0x0
	.amdhsa_kernel _Z13topk_moe_cudaILi16ELb1EEvPKfPfPiS2_iiff15topk_moe_config
		.amdhsa_group_segment_fixed_size 0
		.amdhsa_private_segment_fixed_size 0
		.amdhsa_kernarg_size 312
		.amdhsa_user_sgpr_count 6
		.amdhsa_user_sgpr_private_segment_buffer 1
		.amdhsa_user_sgpr_dispatch_ptr 0
		.amdhsa_user_sgpr_queue_ptr 0
		.amdhsa_user_sgpr_kernarg_segment_ptr 1
		.amdhsa_user_sgpr_dispatch_id 0
		.amdhsa_user_sgpr_flat_scratch_init 0
		.amdhsa_user_sgpr_kernarg_preload_length 0
		.amdhsa_user_sgpr_kernarg_preload_offset 0
		.amdhsa_user_sgpr_private_segment_size 0
		.amdhsa_uses_dynamic_stack 0
		.amdhsa_system_sgpr_private_segment_wavefront_offset 0
		.amdhsa_system_sgpr_workgroup_id_x 1
		.amdhsa_system_sgpr_workgroup_id_y 0
		.amdhsa_system_sgpr_workgroup_id_z 0
		.amdhsa_system_sgpr_workgroup_info 0
		.amdhsa_system_vgpr_workitem_id 1
		.amdhsa_next_free_vgpr 26
		.amdhsa_next_free_sgpr 16
		.amdhsa_accum_offset 28
		.amdhsa_reserve_vcc 1
		.amdhsa_reserve_flat_scratch 0
		.amdhsa_float_round_mode_32 0
		.amdhsa_float_round_mode_16_64 0
		.amdhsa_float_denorm_mode_32 3
		.amdhsa_float_denorm_mode_16_64 3
		.amdhsa_dx10_clamp 1
		.amdhsa_ieee_mode 1
		.amdhsa_fp16_overflow 0
		.amdhsa_tg_split 0
		.amdhsa_exception_fp_ieee_invalid_op 0
		.amdhsa_exception_fp_denorm_src 0
		.amdhsa_exception_fp_ieee_div_zero 0
		.amdhsa_exception_fp_ieee_overflow 0
		.amdhsa_exception_fp_ieee_underflow 0
		.amdhsa_exception_fp_ieee_inexact 0
		.amdhsa_exception_int_div_zero 0
	.end_amdhsa_kernel
	.section	.text._Z13topk_moe_cudaILi16ELb1EEvPKfPfPiS2_iiff15topk_moe_config,"axG",@progbits,_Z13topk_moe_cudaILi16ELb1EEvPKfPfPiS2_iiff15topk_moe_config,comdat
.Lfunc_end4:
	.size	_Z13topk_moe_cudaILi16ELb1EEvPKfPfPiS2_iiff15topk_moe_config, .Lfunc_end4-_Z13topk_moe_cudaILi16ELb1EEvPKfPfPiS2_iiff15topk_moe_config
                                        ; -- End function
	.section	.AMDGPU.csdata,"",@progbits
; Kernel info:
; codeLenInByte = 2776
; NumSgprs: 20
; NumVgprs: 26
; NumAgprs: 0
; TotalNumVgprs: 26
; ScratchSize: 0
; MemoryBound: 0
; FloatMode: 240
; IeeeMode: 1
; LDSByteSize: 0 bytes/workgroup (compile time only)
; SGPRBlocks: 2
; VGPRBlocks: 3
; NumSGPRsForWavesPerEU: 20
; NumVGPRsForWavesPerEU: 26
; AccumOffset: 28
; Occupancy: 8
; WaveLimiterHint : 0
; COMPUTE_PGM_RSRC2:SCRATCH_EN: 0
; COMPUTE_PGM_RSRC2:USER_SGPR: 6
; COMPUTE_PGM_RSRC2:TRAP_HANDLER: 0
; COMPUTE_PGM_RSRC2:TGID_X_EN: 1
; COMPUTE_PGM_RSRC2:TGID_Y_EN: 0
; COMPUTE_PGM_RSRC2:TGID_Z_EN: 0
; COMPUTE_PGM_RSRC2:TIDIG_COMP_CNT: 1
; COMPUTE_PGM_RSRC3_GFX90A:ACCUM_OFFSET: 6
; COMPUTE_PGM_RSRC3_GFX90A:TG_SPLIT: 0
	.section	.text._Z13topk_moe_cudaILi32ELb1EEvPKfPfPiS2_iiff15topk_moe_config,"axG",@progbits,_Z13topk_moe_cudaILi32ELb1EEvPKfPfPiS2_iiff15topk_moe_config,comdat
	.protected	_Z13topk_moe_cudaILi32ELb1EEvPKfPfPiS2_iiff15topk_moe_config ; -- Begin function _Z13topk_moe_cudaILi32ELb1EEvPKfPfPiS2_iiff15topk_moe_config
	.globl	_Z13topk_moe_cudaILi32ELb1EEvPKfPfPiS2_iiff15topk_moe_config
	.p2align	8
	.type	_Z13topk_moe_cudaILi32ELb1EEvPKfPfPiS2_iiff15topk_moe_config,@function
_Z13topk_moe_cudaILi32ELb1EEvPKfPfPiS2_iiff15topk_moe_config: ; @_Z13topk_moe_cudaILi32ELb1EEvPKfPfPiS2_iiff15topk_moe_config
; %bb.0:
	s_load_dword s0, s[4:5], 0x44
	s_load_dwordx4 s[16:19], s[4:5], 0x20
	v_bfe_u32 v1, v0, 10, 10
	s_waitcnt lgkmcnt(0)
	s_lshr_b32 s0, s0, 16
	s_mul_i32 s6, s6, s0
	v_add_u32_e32 v9, s6, v1
	v_cmp_gt_i32_e32 vcc, s16, v9
	s_and_saveexec_b64 s[0:1], vcc
	s_cbranch_execz .LBB5_33
; %bb.1:
	s_load_dwordx8 s[8:15], s[4:5], 0x0
	v_lshlrev_b32_e32 v2, 5, v9
	v_ashrrev_i32_e32 v3, 31, v2
	v_lshlrev_b64 v[2:3], 2, v[2:3]
	v_and_b32_e32 v11, 0x3ff, v0
	s_waitcnt lgkmcnt(0)
	v_mov_b32_e32 v4, s9
	v_add_co_u32_e32 v5, vcc, s8, v2
	v_addc_co_u32_e32 v6, vcc, v4, v3, vcc
	v_lshlrev_b32_e32 v10, 2, v11
	v_add_co_u32_e32 v4, vcc, v5, v10
	v_mov_b32_e32 v1, 0
	v_addc_co_u32_e32 v5, vcc, 0, v6, vcc
	global_load_ushort v1, v1, s[4:5] offset:48
	s_load_dword s0, s[4:5], 0x30
	global_load_dword v4, v[4:5], off
	s_waitcnt lgkmcnt(0)
	s_bitcmp1_b32 s0, 16
	s_cselect_b64 s[4:5], -1, 0
	s_and_b64 vcc, exec, s[4:5]
	s_cbranch_vccnz .LBB5_7
; %bb.2:
	s_waitcnt vmcnt(1)
	v_and_b32_e32 v0, 1, v1
	v_cmp_eq_u32_e32 vcc, 0, v0
	s_cbranch_vccz .LBB5_4
; %bb.3:
	v_mbcnt_lo_u32_b32 v5, -1, 0
	v_mbcnt_hi_u32_b32 v5, -1, v5
	v_and_b32_e32 v6, 0x60, v5
	v_add_u32_e32 v6, 32, v6
	v_xor_b32_e32 v7, 16, v5
	v_cmp_lt_i32_e32 vcc, v7, v6
	s_waitcnt vmcnt(0)
	v_max_f32_e32 v0, v4, v4
	v_cndmask_b32_e32 v7, v5, v7, vcc
	v_max_f32_e32 v0, 0xff800000, v0
	v_lshlrev_b32_e32 v7, 2, v7
	ds_bpermute_b32 v8, v7, v0
	s_mov_b32 s0, 0x3fb8aa3b
	s_waitcnt lgkmcnt(0)
	v_max_f32_e32 v8, v8, v8
	v_max_f32_e32 v0, v0, v8
	v_xor_b32_e32 v8, 8, v5
	v_cmp_lt_i32_e32 vcc, v8, v6
	v_cndmask_b32_e32 v8, v5, v8, vcc
	v_lshlrev_b32_e32 v8, 2, v8
	ds_bpermute_b32 v12, v8, v0
	s_waitcnt lgkmcnt(0)
	v_max_f32_e32 v12, v12, v12
	v_max_f32_e32 v0, v0, v12
	v_xor_b32_e32 v12, 4, v5
	v_cmp_lt_i32_e32 vcc, v12, v6
	v_cndmask_b32_e32 v12, v5, v12, vcc
	v_lshlrev_b32_e32 v12, 2, v12
	ds_bpermute_b32 v13, v12, v0
	;; [unrolled: 8-line block ×4, first 2 shown]
	s_waitcnt lgkmcnt(0)
	v_max_f32_e32 v6, v6, v6
	v_max_f32_e32 v0, v0, v6
	v_sub_f32_e32 v0, v4, v0
	v_mul_f32_e32 v6, 0x3fb8aa3b, v0
	v_fma_f32 v14, v0, s0, -v6
	v_rndne_f32_e32 v15, v6
	v_fmac_f32_e32 v14, 0x32a5705f, v0
	v_sub_f32_e32 v6, v6, v15
	v_add_f32_e32 v6, v6, v14
	v_exp_f32_e32 v6, v6
	v_cvt_i32_f32_e32 v14, v15
	s_mov_b32 s0, 0xc2ce8ed0
	v_cmp_ngt_f32_e32 vcc, s0, v0
	s_mov_b32 s0, 0x42b17218
	v_ldexp_f32 v6, v6, v14
	v_cndmask_b32_e32 v6, 0, v6, vcc
	v_mov_b32_e32 v14, 0x7f800000
	v_cmp_nlt_f32_e32 vcc, s0, v0
	v_cndmask_b32_e32 v0, v14, v6, vcc
	ds_bpermute_b32 v6, v7, v0
	s_waitcnt lgkmcnt(0)
	v_add_f32_e32 v6, v0, v6
	ds_bpermute_b32 v7, v8, v6
	s_waitcnt lgkmcnt(0)
	v_add_f32_e32 v6, v6, v7
	;; [unrolled: 3-line block ×5, first 2 shown]
	v_div_scale_f32 v6, s[0:1], v5, v5, 1.0
	v_rcp_f32_e32 v7, v6
	v_div_scale_f32 v8, vcc, 1.0, v5, 1.0
	v_fma_f32 v12, -v6, v7, 1.0
	v_fmac_f32_e32 v7, v12, v7
	v_mul_f32_e32 v12, v8, v7
	v_fma_f32 v13, -v6, v12, v8
	v_fmac_f32_e32 v12, v13, v7
	v_fma_f32 v6, -v6, v12, v8
	v_div_fmas_f32 v6, v6, v7, v12
	v_div_fixup_f32 v5, v6, v5, 1.0
	v_mul_f32_e32 v0, v0, v5
	s_cbranch_execz .LBB5_5
	s_branch .LBB5_6
.LBB5_4:
                                        ; implicit-def: $vgpr0
.LBB5_5:
	s_waitcnt vmcnt(0)
	v_mul_f32_e32 v0, 0xbfb8aa3b, v4
	s_mov_b32 s0, 0xbfb8aa3b
	v_rndne_f32_e32 v5, v0
	v_sub_f32_e32 v6, v0, v5
	v_fma_f32 v0, v4, s0, -v0
	v_fmac_f32_e32 v0, 0xb2a5705f, v4
	v_add_f32_e32 v0, v6, v0
	v_exp_f32_e32 v0, v0
	v_cvt_i32_f32_e32 v5, v5
	s_mov_b32 s0, 0x42ce8ed0
	v_cmp_nlt_f32_e32 vcc, s0, v4
	s_mov_b32 s0, 0xc2b17218
	v_ldexp_f32 v0, v0, v5
	v_cndmask_b32_e32 v0, 0, v0, vcc
	v_mov_b32_e32 v5, 0x7f800000
	v_cmp_ngt_f32_e32 vcc, s0, v4
	v_cndmask_b32_e32 v0, v5, v0, vcc
	v_add_f32_e32 v0, 1.0, v0
	v_div_scale_f32 v4, s[0:1], v0, v0, 1.0
	v_rcp_f32_e32 v5, v4
	v_fma_f32 v6, -v4, v5, 1.0
	v_fmac_f32_e32 v5, v6, v5
	v_div_scale_f32 v6, vcc, 1.0, v0, 1.0
	v_mul_f32_e32 v7, v6, v5
	v_fma_f32 v8, -v4, v7, v6
	v_fmac_f32_e32 v7, v8, v5
	v_fma_f32 v4, -v4, v7, v6
	v_div_fmas_f32 v4, v4, v5, v7
	v_div_fixup_f32 v0, v4, v0, 1.0
.LBB5_6:
	s_waitcnt vmcnt(0)
	v_mov_b32_e32 v4, v0
.LBB5_7:
	s_waitcnt vmcnt(1)
	v_lshrrev_b16_e32 v0, 8, v1
	s_cmp_gt_i32 s17, 0
	v_readfirstlane_b32 s2, v0
	s_cbranch_scc1 .LBB5_9
; %bb.8:
	s_bitcmp1_b32 s2, 0
	s_mov_b64 s[0:1], 0
	s_mov_b32 s3, 0
	s_cselect_b64 s[6:7], -1, 0
	s_branch .LBB5_10
.LBB5_9:
	s_mov_b64 s[0:1], -1
                                        ; implicit-def: $sgpr3
                                        ; implicit-def: $sgpr6_sgpr7
.LBB5_10:
	s_andn2_b64 vcc, exec, s[0:1]
	v_mov_b32_e32 v14, s3
	v_mbcnt_lo_u32_b32 v12, -1, 0
	v_mov_b32_e32 v13, s3
	s_cbranch_vccnz .LBB5_29
; %bb.11:
	global_load_dword v5, v10, s[14:15]
	v_mov_b32_e32 v1, s13
	v_add_co_u32_e32 v0, vcc, s12, v2
	v_mbcnt_hi_u32_b32 v7, -1, v12
	v_addc_co_u32_e32 v1, vcc, v1, v3, vcc
	v_mov_b32_e32 v6, 0xff7fffff
	s_waitcnt vmcnt(1)
	v_cmp_o_f32_e32 vcc, v4, v4
	v_and_b32_e32 v3, 0x60, v7
	v_cndmask_b32_e32 v2, v6, v4, vcc
	v_xor_b32_e32 v4, 16, v7
	v_add_u32_e32 v3, 32, v3
	v_xor_b32_e32 v6, 8, v7
	v_cmp_lt_i32_e32 vcc, v4, v3
	v_xor_b32_e32 v8, 4, v7
	v_cndmask_b32_e32 v4, v7, v4, vcc
	v_cmp_lt_i32_e32 vcc, v6, v3
	v_xor_b32_e32 v13, 2, v7
	v_cndmask_b32_e32 v6, v7, v6, vcc
	;; [unrolled: 3-line block ×3, first 2 shown]
	v_cmp_lt_i32_e32 vcc, v13, v3
	v_cndmask_b32_e32 v13, v7, v13, vcc
	v_cmp_lt_i32_e32 vcc, v16, v3
	s_bitcmp1_b32 s2, 0
	v_cndmask_b32_e32 v3, v7, v16, vcc
	s_mov_b32 s13, 0
	v_mov_b32_e32 v14, 0
	v_mov_b32_e32 v15, 0xff800000
	s_cselect_b64 s[6:7], -1, 0
	v_lshlrev_b32_e32 v16, 2, v4
	v_lshlrev_b32_e32 v17, 2, v6
	;; [unrolled: 1-line block ×5, first 2 shown]
	v_mov_b32_e32 v13, 0
	s_waitcnt vmcnt(0)
	v_add_f32_e32 v3, v5, v2
	s_branch .LBB5_13
.LBB5_12:                               ;   in Loop: Header=BB5_13 Depth=1
	s_or_b64 exec, exec, s[0:1]
	s_and_b32 s0, s13, 31
	v_cndmask_b32_e32 v3, v3, v15, vcc
	v_cmp_eq_u32_e32 vcc, s0, v11
	v_cndmask_b32_e32 v13, v13, v4, vcc
	s_add_i32 s13, s13, 1
	v_add_co_u32_e32 v0, vcc, 4, v0
	s_cmp_eq_u32 s17, s13
	v_addc_co_u32_e32 v1, vcc, 0, v1, vcc
	s_cbranch_scc1 .LBB5_29
.LBB5_13:                               ; =>This Inner Loop Header: Depth=1
	ds_bpermute_b32 v7, v16, v3
	ds_bpermute_b32 v8, v16, v11
	;; [unrolled: 1-line block ×3, first 2 shown]
	v_mov_b32_e32 v21, v3
	v_mov_b32_e32 v23, v2
	s_waitcnt lgkmcnt(2)
	v_cmp_eq_f32_e64 s[0:1], v3, v7
	s_waitcnt lgkmcnt(1)
	v_cmp_lt_i32_e64 s[2:3], v8, v11
	v_cmp_lt_f32_e32 vcc, v3, v7
	s_and_b64 s[0:1], s[0:1], s[2:3]
	s_or_b64 s[2:3], vcc, s[0:1]
	v_mov_b32_e32 v22, v11
	v_pk_mov_b32 v[4:5], v[2:3], v[2:3] op_sel:[0,1]
	s_and_saveexec_b64 s[0:1], s[2:3]
	s_cbranch_execz .LBB5_15
; %bb.14:                               ;   in Loop: Header=BB5_13 Depth=1
	v_mov_b32_e32 v21, v7
	s_waitcnt lgkmcnt(0)
	v_mov_b32_e32 v23, v6
	v_mov_b32_e32 v22, v8
	v_pk_mov_b32 v[4:5], v[6:7], v[6:7] op_sel:[0,1]
.LBB5_15:                               ;   in Loop: Header=BB5_13 Depth=1
	s_or_b64 exec, exec, s[0:1]
	ds_bpermute_b32 v25, v17, v21
	ds_bpermute_b32 v8, v17, v23
	ds_bpermute_b32 v24, v17, v22
	s_waitcnt lgkmcnt(2)
	v_cmp_lt_f32_e64 s[2:3], v5, v25
	v_cmp_nlt_f32_e32 vcc, v5, v25
	s_and_saveexec_b64 s[8:9], vcc
	s_cbranch_execz .LBB5_17
; %bb.16:                               ;   in Loop: Header=BB5_13 Depth=1
	v_cmp_eq_f32_e32 vcc, v5, v25
	s_waitcnt lgkmcnt(0)
	v_cmp_lt_i32_e64 s[0:1], v24, v22
	s_and_b64 s[0:1], vcc, s[0:1]
	s_andn2_b64 s[2:3], s[2:3], exec
	s_and_b64 s[0:1], s[0:1], exec
	s_or_b64 s[2:3], s[2:3], s[0:1]
.LBB5_17:                               ;   in Loop: Header=BB5_13 Depth=1
	s_or_b64 exec, exec, s[8:9]
	v_pk_mov_b32 v[6:7], v[4:5], v[4:5] op_sel:[0,1]
	s_and_saveexec_b64 s[0:1], s[2:3]
	s_cbranch_execz .LBB5_19
; %bb.18:                               ;   in Loop: Header=BB5_13 Depth=1
	v_mov_b32_e32 v5, v25
	v_mov_b32_e32 v21, v25
	s_waitcnt lgkmcnt(1)
	v_mov_b32_e32 v23, v8
	s_waitcnt lgkmcnt(0)
	v_mov_b32_e32 v22, v24
	v_pk_mov_b32 v[6:7], v[8:9], v[8:9] op_sel:[0,1]
.LBB5_19:                               ;   in Loop: Header=BB5_13 Depth=1
	s_or_b64 exec, exec, s[0:1]
	s_waitcnt lgkmcnt(1)
	ds_bpermute_b32 v8, v18, v21
	ds_bpermute_b32 v4, v18, v23
	;; [unrolled: 1-line block ×3, first 2 shown]
	s_waitcnt lgkmcnt(2)
	v_cmp_lt_f32_e64 s[2:3], v5, v8
	v_cmp_nlt_f32_e32 vcc, v5, v8
	s_and_saveexec_b64 s[8:9], vcc
	s_cbranch_execz .LBB5_21
; %bb.20:                               ;   in Loop: Header=BB5_13 Depth=1
	v_cmp_eq_f32_e32 vcc, v5, v8
	s_waitcnt lgkmcnt(0)
	v_cmp_lt_i32_e64 s[0:1], v7, v22
	s_and_b64 s[0:1], vcc, s[0:1]
	s_andn2_b64 s[2:3], s[2:3], exec
	s_and_b64 s[0:1], s[0:1], exec
	s_or_b64 s[2:3], s[2:3], s[0:1]
.LBB5_21:                               ;   in Loop: Header=BB5_13 Depth=1
	s_or_b64 exec, exec, s[8:9]
	s_and_saveexec_b64 s[0:1], s[2:3]
	s_cbranch_execz .LBB5_23
; %bb.22:                               ;   in Loop: Header=BB5_13 Depth=1
	v_mov_b32_e32 v5, v8
	v_mov_b32_e32 v21, v8
	s_waitcnt lgkmcnt(1)
	v_mov_b32_e32 v23, v4
	s_waitcnt lgkmcnt(0)
	v_mov_b32_e32 v22, v7
	v_pk_mov_b32 v[6:7], v[4:5], v[4:5] op_sel:[0,1]
.LBB5_23:                               ;   in Loop: Header=BB5_13 Depth=1
	s_or_b64 exec, exec, s[0:1]
	ds_bpermute_b32 v8, v19, v21
	s_waitcnt lgkmcnt(2)
	ds_bpermute_b32 v4, v19, v23
	s_waitcnt lgkmcnt(2)
	ds_bpermute_b32 v7, v19, v22
	s_waitcnt lgkmcnt(2)
	v_cmp_lt_f32_e64 s[2:3], v5, v8
	v_cmp_nlt_f32_e32 vcc, v5, v8
	s_and_saveexec_b64 s[8:9], vcc
	s_cbranch_execz .LBB5_25
; %bb.24:                               ;   in Loop: Header=BB5_13 Depth=1
	v_cmp_eq_f32_e32 vcc, v5, v8
	s_waitcnt lgkmcnt(0)
	v_cmp_lt_i32_e64 s[0:1], v7, v22
	s_and_b64 s[0:1], vcc, s[0:1]
	s_andn2_b64 s[2:3], s[2:3], exec
	s_and_b64 s[0:1], s[0:1], exec
	s_or_b64 s[2:3], s[2:3], s[0:1]
.LBB5_25:                               ;   in Loop: Header=BB5_13 Depth=1
	s_or_b64 exec, exec, s[8:9]
	s_and_saveexec_b64 s[0:1], s[2:3]
	s_cbranch_execz .LBB5_27
; %bb.26:                               ;   in Loop: Header=BB5_13 Depth=1
	v_mov_b32_e32 v5, v8
	v_mov_b32_e32 v21, v8
	s_waitcnt lgkmcnt(1)
	v_mov_b32_e32 v23, v4
	s_waitcnt lgkmcnt(0)
	v_mov_b32_e32 v22, v7
	v_pk_mov_b32 v[6:7], v[4:5], v[4:5] op_sel:[0,1]
.LBB5_27:                               ;   in Loop: Header=BB5_13 Depth=1
	s_or_b64 exec, exec, s[0:1]
	s_waitcnt lgkmcnt(1)
	ds_bpermute_b32 v4, v20, v21
	s_waitcnt lgkmcnt(1)
	ds_bpermute_b32 v7, v20, v22
	ds_bpermute_b32 v8, v20, v23
	s_waitcnt lgkmcnt(2)
	v_cmp_eq_f32_e64 s[0:1], v5, v4
	s_waitcnt lgkmcnt(1)
	v_cmp_lt_i32_e64 s[2:3], v7, v22
	v_cmp_lt_f32_e32 vcc, v5, v4
	s_and_b64 s[0:1], s[0:1], s[2:3]
	s_or_b64 vcc, vcc, s[0:1]
	v_cndmask_b32_e32 v5, v22, v7, vcc
	s_waitcnt lgkmcnt(0)
	v_cndmask_b32_e32 v4, v6, v8, vcc
	v_and_b32_e32 v6, 31, v5
	v_cmp_eq_u32_e32 vcc, v6, v11
	s_and_saveexec_b64 s[0:1], vcc
	s_cbranch_execz .LBB5_12
; %bb.28:                               ;   in Loop: Header=BB5_13 Depth=1
	v_add_f32_e32 v6, v14, v4
	v_cndmask_b32_e64 v14, v14, v6, s[6:7]
	global_store_dword v[0:1], v5, off
	s_branch .LBB5_12
.LBB5_29:
	s_and_b64 vcc, exec, s[6:7]
	s_cbranch_vccnz .LBB5_34
; %bb.30:
	s_andn2_b64 vcc, exec, s[4:5]
	v_cmp_gt_i32_e64 s[0:1], s17, v11
	s_cbranch_vccz .LBB5_35
.LBB5_31:
	v_cmp_gt_i32_e32 vcc, s17, v11
	s_and_b64 exec, exec, vcc
	s_cbranch_execz .LBB5_33
.LBB5_32:
	v_mul_lo_u32 v0, v9, s17
	v_ashrrev_i32_e32 v1, 31, v0
	v_lshlrev_b64 v[0:1], 2, v[0:1]
	s_waitcnt lgkmcnt(0)
	v_mov_b32_e32 v2, s11
	v_add_co_u32_e32 v0, vcc, s10, v0
	v_addc_co_u32_e32 v1, vcc, v2, v1, vcc
	v_add_co_u32_e32 v0, vcc, v0, v10
	v_addc_co_u32_e32 v1, vcc, 0, v1, vcc
	v_mul_f32_e32 v2, s19, v13
	global_store_dword v[0:1], v2, off
.LBB5_33:
	s_endpgm
.LBB5_34:
	v_mbcnt_hi_u32_b32 v0, -1, v12
	v_and_b32_e32 v1, 0x60, v0
	v_add_u32_e32 v1, 32, v1
	v_xor_b32_e32 v2, 16, v0
	v_cmp_lt_i32_e32 vcc, v2, v1
	v_cndmask_b32_e32 v2, v0, v2, vcc
	v_lshlrev_b32_e32 v2, 2, v2
	ds_bpermute_b32 v2, v2, v14
	v_xor_b32_e32 v3, 8, v0
	v_cmp_lt_i32_e32 vcc, v3, v1
	v_cndmask_b32_e32 v3, v0, v3, vcc
	v_lshlrev_b32_e32 v3, 2, v3
	s_waitcnt lgkmcnt(0)
	v_add_f32_e32 v2, v14, v2
	ds_bpermute_b32 v3, v3, v2
	s_waitcnt vmcnt(0)
	v_xor_b32_e32 v4, 4, v0
	v_cmp_lt_i32_e32 vcc, v4, v1
	s_waitcnt lgkmcnt(0)
	v_add_f32_e32 v2, v2, v3
	v_cndmask_b32_e32 v3, v0, v4, vcc
	v_lshlrev_b32_e32 v3, 2, v3
	ds_bpermute_b32 v3, v3, v2
	v_xor_b32_e32 v4, 2, v0
	v_cmp_lt_i32_e32 vcc, v4, v1
	s_waitcnt lgkmcnt(0)
	v_add_f32_e32 v2, v2, v3
	v_cndmask_b32_e32 v3, v0, v4, vcc
	v_lshlrev_b32_e32 v3, 2, v3
	ds_bpermute_b32 v3, v3, v2
	v_xor_b32_e32 v4, 1, v0
	v_cmp_lt_i32_e32 vcc, v4, v1
	v_cndmask_b32_e32 v0, v0, v4, vcc
	v_lshlrev_b32_e32 v0, 2, v0
	s_waitcnt lgkmcnt(0)
	v_add_f32_e32 v2, v2, v3
	ds_bpermute_b32 v0, v0, v2
	v_max_f32_e64 v1, s18, s18
	s_waitcnt lgkmcnt(0)
	v_add_f32_e32 v0, v2, v0
	v_max_f32_e32 v0, v0, v1
	v_div_scale_f32 v1, s[0:1], v0, v0, 1.0
	v_rcp_f32_e32 v2, v1
	v_div_scale_f32 v3, vcc, 1.0, v0, 1.0
	v_fma_f32 v4, -v1, v2, 1.0
	v_fmac_f32_e32 v2, v4, v2
	v_mul_f32_e32 v4, v3, v2
	v_fma_f32 v5, -v1, v4, v3
	v_fmac_f32_e32 v4, v5, v2
	v_fma_f32 v1, -v1, v4, v3
	v_div_fmas_f32 v1, v1, v2, v4
	v_div_fixup_f32 v0, v1, v0, 1.0
	v_mul_f32_e32 v13, v13, v0
	s_andn2_b64 vcc, exec, s[4:5]
	v_cmp_gt_i32_e64 s[0:1], s17, v11
	s_cbranch_vccnz .LBB5_31
.LBB5_35:
	v_max_f32_e32 v0, v13, v13
	v_max_f32_e32 v0, 0xff800000, v0
	v_mov_b32_e32 v1, 0xff800000
	v_cndmask_b32_e64 v0, v1, v0, s[0:1]
	v_mbcnt_hi_u32_b32 v1, -1, v12
	v_and_b32_e32 v2, 0x60, v1
	v_add_u32_e32 v2, 32, v2
	v_xor_b32_e32 v3, 16, v1
	v_cmp_lt_i32_e32 vcc, v3, v2
	v_cndmask_b32_e32 v3, v1, v3, vcc
	v_lshlrev_b32_e32 v3, 2, v3
	s_waitcnt vmcnt(0)
	ds_bpermute_b32 v4, v3, v0
	s_mov_b32 s2, 0x3fb8aa3b
	s_waitcnt lgkmcnt(0)
	v_max_f32_e32 v4, v4, v4
	v_max_f32_e32 v0, v0, v4
	v_xor_b32_e32 v4, 8, v1
	v_cmp_lt_i32_e32 vcc, v4, v2
	v_cndmask_b32_e32 v4, v1, v4, vcc
	v_lshlrev_b32_e32 v4, 2, v4
	ds_bpermute_b32 v5, v4, v0
	s_waitcnt lgkmcnt(0)
	v_max_f32_e32 v5, v5, v5
	v_max_f32_e32 v0, v0, v5
	v_xor_b32_e32 v5, 4, v1
	v_cmp_lt_i32_e32 vcc, v5, v2
	v_cndmask_b32_e32 v5, v1, v5, vcc
	v_lshlrev_b32_e32 v5, 2, v5
	ds_bpermute_b32 v6, v5, v0
	;; [unrolled: 8-line block ×4, first 2 shown]
	s_waitcnt lgkmcnt(0)
	v_max_f32_e32 v1, v1, v1
	v_max_f32_e32 v0, v0, v1
	v_sub_f32_e32 v0, v13, v0
	v_mul_f32_e32 v1, 0x3fb8aa3b, v0
	v_fma_f32 v7, v0, s2, -v1
	v_rndne_f32_e32 v8, v1
	v_fmac_f32_e32 v7, 0x32a5705f, v0
	v_sub_f32_e32 v1, v1, v8
	v_add_f32_e32 v1, v1, v7
	v_exp_f32_e32 v1, v1
	v_cvt_i32_f32_e32 v7, v8
	s_mov_b32 s2, 0xc2ce8ed0
	v_cmp_ngt_f32_e32 vcc, s2, v0
	s_mov_b32 s2, 0x42b17218
	v_ldexp_f32 v1, v1, v7
	v_cndmask_b32_e32 v1, 0, v1, vcc
	v_mov_b32_e32 v7, 0x7f800000
	v_cmp_nlt_f32_e32 vcc, s2, v0
	v_cndmask_b32_e32 v0, v7, v1, vcc
	v_cndmask_b32_e64 v1, 0, v0, s[0:1]
	ds_bpermute_b32 v3, v3, v1
	v_mov_b32_e32 v13, 0
	s_waitcnt lgkmcnt(0)
	v_add_f32_e32 v1, v1, v3
	ds_bpermute_b32 v3, v4, v1
	s_waitcnt lgkmcnt(0)
	v_add_f32_e32 v1, v1, v3
	ds_bpermute_b32 v3, v5, v1
	;; [unrolled: 3-line block ×4, first 2 shown]
	s_and_saveexec_b64 s[2:3], s[0:1]
	s_cbranch_execz .LBB5_37
; %bb.36:
	s_waitcnt lgkmcnt(0)
	v_add_f32_e32 v1, v1, v2
	v_div_scale_f32 v2, s[0:1], v1, v1, 1.0
	v_rcp_f32_e32 v3, v2
	v_div_scale_f32 v4, vcc, 1.0, v1, 1.0
	v_fma_f32 v5, -v2, v3, 1.0
	v_fmac_f32_e32 v3, v5, v3
	v_mul_f32_e32 v5, v4, v3
	v_fma_f32 v6, -v2, v5, v4
	v_fmac_f32_e32 v5, v6, v3
	v_fma_f32 v2, -v2, v5, v4
	v_div_fmas_f32 v2, v2, v3, v5
	v_div_fixup_f32 v1, v2, v1, 1.0
	v_mul_f32_e32 v13, v0, v1
.LBB5_37:
	s_or_b64 exec, exec, s[2:3]
	v_cmp_gt_i32_e32 vcc, s17, v11
	s_and_b64 exec, exec, vcc
	s_cbranch_execnz .LBB5_32
	s_branch .LBB5_33
	.section	.rodata,"a",@progbits
	.p2align	6, 0x0
	.amdhsa_kernel _Z13topk_moe_cudaILi32ELb1EEvPKfPfPiS2_iiff15topk_moe_config
		.amdhsa_group_segment_fixed_size 0
		.amdhsa_private_segment_fixed_size 0
		.amdhsa_kernarg_size 312
		.amdhsa_user_sgpr_count 6
		.amdhsa_user_sgpr_private_segment_buffer 1
		.amdhsa_user_sgpr_dispatch_ptr 0
		.amdhsa_user_sgpr_queue_ptr 0
		.amdhsa_user_sgpr_kernarg_segment_ptr 1
		.amdhsa_user_sgpr_dispatch_id 0
		.amdhsa_user_sgpr_flat_scratch_init 0
		.amdhsa_user_sgpr_kernarg_preload_length 0
		.amdhsa_user_sgpr_kernarg_preload_offset 0
		.amdhsa_user_sgpr_private_segment_size 0
		.amdhsa_uses_dynamic_stack 0
		.amdhsa_system_sgpr_private_segment_wavefront_offset 0
		.amdhsa_system_sgpr_workgroup_id_x 1
		.amdhsa_system_sgpr_workgroup_id_y 0
		.amdhsa_system_sgpr_workgroup_id_z 0
		.amdhsa_system_sgpr_workgroup_info 0
		.amdhsa_system_vgpr_workitem_id 1
		.amdhsa_next_free_vgpr 26
		.amdhsa_next_free_sgpr 20
		.amdhsa_accum_offset 28
		.amdhsa_reserve_vcc 1
		.amdhsa_reserve_flat_scratch 0
		.amdhsa_float_round_mode_32 0
		.amdhsa_float_round_mode_16_64 0
		.amdhsa_float_denorm_mode_32 3
		.amdhsa_float_denorm_mode_16_64 3
		.amdhsa_dx10_clamp 1
		.amdhsa_ieee_mode 1
		.amdhsa_fp16_overflow 0
		.amdhsa_tg_split 0
		.amdhsa_exception_fp_ieee_invalid_op 0
		.amdhsa_exception_fp_denorm_src 0
		.amdhsa_exception_fp_ieee_div_zero 0
		.amdhsa_exception_fp_ieee_overflow 0
		.amdhsa_exception_fp_ieee_underflow 0
		.amdhsa_exception_fp_ieee_inexact 0
		.amdhsa_exception_int_div_zero 0
	.end_amdhsa_kernel
	.section	.text._Z13topk_moe_cudaILi32ELb1EEvPKfPfPiS2_iiff15topk_moe_config,"axG",@progbits,_Z13topk_moe_cudaILi32ELb1EEvPKfPfPiS2_iiff15topk_moe_config,comdat
.Lfunc_end5:
	.size	_Z13topk_moe_cudaILi32ELb1EEvPKfPfPiS2_iiff15topk_moe_config, .Lfunc_end5-_Z13topk_moe_cudaILi32ELb1EEvPKfPfPiS2_iiff15topk_moe_config
                                        ; -- End function
	.section	.AMDGPU.csdata,"",@progbits
; Kernel info:
; codeLenInByte = 2700
; NumSgprs: 24
; NumVgprs: 26
; NumAgprs: 0
; TotalNumVgprs: 26
; ScratchSize: 0
; MemoryBound: 0
; FloatMode: 240
; IeeeMode: 1
; LDSByteSize: 0 bytes/workgroup (compile time only)
; SGPRBlocks: 2
; VGPRBlocks: 3
; NumSGPRsForWavesPerEU: 24
; NumVGPRsForWavesPerEU: 26
; AccumOffset: 28
; Occupancy: 8
; WaveLimiterHint : 0
; COMPUTE_PGM_RSRC2:SCRATCH_EN: 0
; COMPUTE_PGM_RSRC2:USER_SGPR: 6
; COMPUTE_PGM_RSRC2:TRAP_HANDLER: 0
; COMPUTE_PGM_RSRC2:TGID_X_EN: 1
; COMPUTE_PGM_RSRC2:TGID_Y_EN: 0
; COMPUTE_PGM_RSRC2:TGID_Z_EN: 0
; COMPUTE_PGM_RSRC2:TIDIG_COMP_CNT: 1
; COMPUTE_PGM_RSRC3_GFX90A:ACCUM_OFFSET: 6
; COMPUTE_PGM_RSRC3_GFX90A:TG_SPLIT: 0
	.section	.text._Z13topk_moe_cudaILi64ELb1EEvPKfPfPiS2_iiff15topk_moe_config,"axG",@progbits,_Z13topk_moe_cudaILi64ELb1EEvPKfPfPiS2_iiff15topk_moe_config,comdat
	.protected	_Z13topk_moe_cudaILi64ELb1EEvPKfPfPiS2_iiff15topk_moe_config ; -- Begin function _Z13topk_moe_cudaILi64ELb1EEvPKfPfPiS2_iiff15topk_moe_config
	.globl	_Z13topk_moe_cudaILi64ELb1EEvPKfPfPiS2_iiff15topk_moe_config
	.p2align	8
	.type	_Z13topk_moe_cudaILi64ELb1EEvPKfPfPiS2_iiff15topk_moe_config,@function
_Z13topk_moe_cudaILi64ELb1EEvPKfPfPiS2_iiff15topk_moe_config: ; @_Z13topk_moe_cudaILi64ELb1EEvPKfPfPiS2_iiff15topk_moe_config
; %bb.0:
	s_load_dword s0, s[4:5], 0x44
	s_load_dwordx4 s[16:19], s[4:5], 0x20
	v_bfe_u32 v1, v0, 10, 10
	s_waitcnt lgkmcnt(0)
	s_lshr_b32 s0, s0, 16
	s_mul_i32 s6, s6, s0
	v_add_u32_e32 v13, s6, v1
	v_cmp_gt_i32_e32 vcc, s16, v13
	s_and_saveexec_b64 s[0:1], vcc
	s_cbranch_execz .LBB6_41
; %bb.1:
	s_load_dwordx8 s[8:15], s[4:5], 0x0
	v_lshlrev_b32_e32 v2, 6, v13
	v_ashrrev_i32_e32 v3, 31, v2
	v_mov_b32_e32 v1, 0
	v_lshlrev_b64 v[4:5], 2, v[2:3]
	global_load_ushort v6, v1, s[4:5] offset:48
	s_waitcnt lgkmcnt(0)
	v_mov_b32_e32 v1, s9
	v_add_co_u32_e32 v2, vcc, s8, v4
	v_and_b32_e32 v14, 0x3ff, v0
	v_addc_co_u32_e32 v1, vcc, v1, v5, vcc
	v_lshlrev_b32_e32 v11, 2, v14
	v_add_co_u32_e32 v0, vcc, v2, v11
	v_addc_co_u32_e32 v1, vcc, 0, v1, vcc
	global_load_dword v2, v[0:1], off
	global_load_dword v3, v[0:1], off offset:128
	s_load_dword s0, s[4:5], 0x30
	s_waitcnt lgkmcnt(0)
	s_bitcmp1_b32 s0, 16
	s_cselect_b64 s[4:5], -1, 0
	s_and_b64 vcc, exec, s[4:5]
	s_cbranch_vccnz .LBB6_7
; %bb.2:
	s_waitcnt vmcnt(2)
	v_and_b32_e32 v0, 1, v6
	v_cmp_eq_u32_e32 vcc, 0, v0
	s_cbranch_vccz .LBB6_4
; %bb.3:
	v_mbcnt_lo_u32_b32 v1, -1, 0
	v_mbcnt_hi_u32_b32 v1, -1, v1
	v_and_b32_e32 v7, 0x60, v1
	v_add_u32_e32 v7, 32, v7
	v_xor_b32_e32 v8, 16, v1
	v_cmp_lt_i32_e32 vcc, v8, v7
	s_mov_b32 s0, 0xff800000
	v_cndmask_b32_e32 v8, v1, v8, vcc
	s_waitcnt vmcnt(0)
	v_max3_f32 v0, v2, s0, v3
	v_lshlrev_b32_e32 v8, 2, v8
	ds_bpermute_b32 v9, v8, v0
	s_mov_b32 s0, 0x3fb8aa3b
	s_mov_b32 s1, 0xc2ce8ed0
	;; [unrolled: 1-line block ×3, first 2 shown]
	s_waitcnt lgkmcnt(0)
	v_max_f32_e32 v9, v9, v9
	v_max_f32_e32 v0, v0, v9
	v_xor_b32_e32 v9, 8, v1
	v_cmp_lt_i32_e32 vcc, v9, v7
	v_cndmask_b32_e32 v9, v1, v9, vcc
	v_lshlrev_b32_e32 v9, 2, v9
	ds_bpermute_b32 v10, v9, v0
	s_waitcnt lgkmcnt(0)
	v_max_f32_e32 v10, v10, v10
	v_max_f32_e32 v0, v0, v10
	v_xor_b32_e32 v10, 4, v1
	v_cmp_lt_i32_e32 vcc, v10, v7
	v_cndmask_b32_e32 v10, v1, v10, vcc
	v_lshlrev_b32_e32 v10, 2, v10
	ds_bpermute_b32 v12, v10, v0
	;; [unrolled: 8-line block ×4, first 2 shown]
	s_waitcnt lgkmcnt(0)
	v_max_f32_e32 v1, v1, v1
	v_max_f32_e32 v0, v0, v1
	v_pk_add_f32 v[0:1], v[2:3], v[0:1] op_sel_hi:[1,0] neg_lo:[0,1] neg_hi:[0,1]
	v_mul_f32_e32 v15, 0x3fb8aa3b, v1
	v_fma_f32 v16, v1, s0, -v15
	v_rndne_f32_e32 v17, v15
	v_fmac_f32_e32 v16, 0x32a5705f, v1
	v_sub_f32_e32 v15, v15, v17
	v_add_f32_e32 v15, v15, v16
	v_exp_f32_e32 v15, v15
	v_cvt_i32_f32_e32 v16, v17
	v_cmp_ngt_f32_e32 vcc, s1, v1
	v_ldexp_f32 v15, v15, v16
	v_mul_f32_e32 v16, 0x3fb8aa3b, v0
	v_fma_f32 v17, v0, s0, -v16
	v_rndne_f32_e32 v18, v16
	v_fmac_f32_e32 v17, 0x32a5705f, v0
	v_sub_f32_e32 v16, v16, v18
	v_add_f32_e32 v16, v16, v17
	v_exp_f32_e32 v16, v16
	v_cvt_i32_f32_e32 v17, v18
	v_cndmask_b32_e32 v15, 0, v15, vcc
	v_mov_b32_e32 v18, 0x7f800000
	v_cmp_nlt_f32_e32 vcc, s2, v1
	v_cndmask_b32_e32 v1, v18, v15, vcc
	v_ldexp_f32 v15, v16, v17
	v_cmp_ngt_f32_e32 vcc, s1, v0
	v_cndmask_b32_e32 v15, 0, v15, vcc
	v_cmp_nlt_f32_e32 vcc, s2, v0
	v_cndmask_b32_e32 v0, v18, v15, vcc
	v_add_f32_e32 v15, v0, v1
	ds_bpermute_b32 v8, v8, v15
	s_waitcnt lgkmcnt(0)
	v_add_f32_e32 v8, v15, v8
	ds_bpermute_b32 v9, v9, v8
	s_waitcnt lgkmcnt(0)
	;; [unrolled: 3-line block ×5, first 2 shown]
	v_add_f32_e32 v7, v8, v7
	v_div_scale_f32 v8, s[0:1], v7, v7, 1.0
	v_rcp_f32_e32 v9, v8
	v_div_scale_f32 v10, vcc, 1.0, v7, 1.0
	v_fma_f32 v12, -v8, v9, 1.0
	v_fmac_f32_e32 v9, v12, v9
	v_mul_f32_e32 v12, v10, v9
	v_fma_f32 v15, -v8, v12, v10
	v_fmac_f32_e32 v12, v15, v9
	v_fma_f32 v8, -v8, v12, v10
	v_div_fmas_f32 v8, v8, v9, v12
	v_div_fixup_f32 v8, v8, v7, 1.0
	v_pk_mul_f32 v[0:1], v[0:1], v[8:9] op_sel_hi:[1,0]
	s_cbranch_execz .LBB6_5
	s_branch .LBB6_6
.LBB6_4:
                                        ; implicit-def: $vgpr1
.LBB6_5:
	s_waitcnt vmcnt(0)
	v_mul_f32_e32 v0, 0xbfb8aa3b, v3
	s_mov_b32 s0, 0xbfb8aa3b
	v_rndne_f32_e32 v1, v0
	v_sub_f32_e32 v7, v0, v1
	v_fma_f32 v0, v3, s0, -v0
	v_fmac_f32_e32 v0, 0xb2a5705f, v3
	v_add_f32_e32 v0, v7, v0
	v_exp_f32_e32 v0, v0
	v_cvt_i32_f32_e32 v1, v1
	s_mov_b32 s1, 0x42ce8ed0
	v_cmp_nlt_f32_e32 vcc, s1, v3
	s_mov_b32 s2, 0xc2b17218
	v_ldexp_f32 v0, v0, v1
	v_mul_f32_e32 v1, 0xbfb8aa3b, v2
	v_rndne_f32_e32 v7, v1
	v_sub_f32_e32 v8, v1, v7
	v_fma_f32 v1, v2, s0, -v1
	v_fmac_f32_e32 v1, 0xb2a5705f, v2
	v_add_f32_e32 v1, v8, v1
	v_exp_f32_e32 v8, v1
	v_cvt_i32_f32_e32 v7, v7
	v_cndmask_b32_e32 v0, 0, v0, vcc
	v_mov_b32_e32 v9, 0x7f800000
	v_cmp_ngt_f32_e32 vcc, s2, v3
	v_cndmask_b32_e32 v1, v9, v0, vcc
	v_ldexp_f32 v0, v8, v7
	v_cmp_nlt_f32_e32 vcc, s1, v2
	v_cndmask_b32_e32 v0, 0, v0, vcc
	v_cmp_ngt_f32_e32 vcc, s2, v2
	v_cndmask_b32_e32 v0, v9, v0, vcc
	v_pk_add_f32 v[0:1], v[0:1], 1.0 op_sel_hi:[1,0]
	v_div_scale_f32 v2, s[0:1], v0, v0, 1.0
	v_rcp_f32_e32 v3, v2
	v_fma_f32 v7, -v2, v3, 1.0
	v_fmac_f32_e32 v3, v7, v3
	v_div_scale_f32 v7, vcc, 1.0, v0, 1.0
	v_mul_f32_e32 v8, v7, v3
	v_fma_f32 v9, -v2, v8, v7
	v_fmac_f32_e32 v8, v9, v3
	v_fma_f32 v2, -v2, v8, v7
	v_div_scale_f32 v7, s[0:1], v1, v1, 1.0
	v_rcp_f32_e32 v9, v7
	v_div_fmas_f32 v2, v2, v3, v8
	v_div_fixup_f32 v0, v2, v0, 1.0
	v_fma_f32 v2, -v7, v9, 1.0
	v_fmac_f32_e32 v9, v2, v9
	v_div_scale_f32 v2, vcc, 1.0, v1, 1.0
	v_mul_f32_e32 v3, v2, v9
	v_fma_f32 v8, -v7, v3, v2
	v_fmac_f32_e32 v3, v8, v9
	v_fma_f32 v2, -v7, v3, v2
	v_div_fmas_f32 v2, v2, v9, v3
	v_div_fixup_f32 v1, v2, v1, 1.0
.LBB6_6:
	s_waitcnt vmcnt(1)
	v_mov_b32_e32 v2, v0
	s_waitcnt vmcnt(0)
	v_mov_b32_e32 v3, v1
.LBB6_7:
	s_waitcnt vmcnt(2)
	v_lshrrev_b16_e32 v0, 8, v6
	s_cmp_gt_i32 s17, 0
	v_readfirstlane_b32 s8, v0
	s_cbranch_scc1 .LBB6_9
; %bb.8:
	s_mov_b32 s0, 0
	s_bitcmp1_b32 s8, 0
	s_mov_b32 s1, s0
	s_mov_b64 s[2:3], 0
	s_cselect_b64 s[6:7], -1, 0
	s_branch .LBB6_10
.LBB6_9:
	s_mov_b64 s[2:3], -1
                                        ; implicit-def: $sgpr0
                                        ; implicit-def: $sgpr6_sgpr7
.LBB6_10:
	v_add_u32_e32 v15, 32, v14
	s_andn2_b64 vcc, exec, s[2:3]
	v_mov_b32_e32 v17, s0
	v_pk_mov_b32 v[0:1], s[0:1], s[0:1] op_sel:[0,1]
	v_mbcnt_lo_u32_b32 v16, -1, 0
	s_cbranch_vccnz .LBB6_33
; %bb.11:
	global_load_dword v6, v11, s[14:15]
	global_load_dword v7, v11, s[14:15] offset:128
	v_mov_b32_e32 v1, 0xff7fffff
	s_waitcnt vmcnt(3)
	v_cmp_o_f32_e32 vcc, v2, v2
	v_mbcnt_hi_u32_b32 v9, -1, v16
	v_cndmask_b32_e32 v2, v1, v2, vcc
	s_waitcnt vmcnt(2)
	v_cmp_u_f32_e32 vcc, v3, v3
	v_mov_b32_e32 v8, s13
	v_cndmask_b32_e32 v3, v3, v1, vcc
	v_add_co_u32_e32 v4, vcc, s12, v4
	v_and_b32_e32 v1, 0x60, v9
	v_addc_co_u32_e32 v5, vcc, v8, v5, vcc
	v_xor_b32_e32 v8, 16, v9
	v_add_u32_e32 v1, 32, v1
	v_xor_b32_e32 v10, 8, v9
	v_cmp_lt_i32_e32 vcc, v8, v1
	v_xor_b32_e32 v12, 4, v9
	v_cndmask_b32_e32 v8, v9, v8, vcc
	v_cmp_lt_i32_e32 vcc, v10, v1
	v_xor_b32_e32 v19, 2, v9
	v_cndmask_b32_e32 v10, v9, v10, vcc
	;; [unrolled: 3-line block ×3, first 2 shown]
	v_cmp_lt_i32_e32 vcc, v19, v1
	v_cndmask_b32_e32 v22, v9, v19, vcc
	v_cmp_lt_i32_e32 vcc, v20, v1
	s_bitcmp1_b32 s8, 0
	v_cndmask_b32_e32 v1, v9, v20, vcc
	s_mov_b32 s13, 0
	v_mov_b32_e32 v17, 0
	v_mov_b32_e32 v18, 0xff800000
	v_mov_b32_e32 v0, 0
	s_cselect_b64 s[6:7], -1, 0
	v_lshlrev_b32_e32 v19, 2, v8
	v_lshlrev_b32_e32 v20, 2, v10
	;; [unrolled: 1-line block ×5, first 2 shown]
	v_mov_b32_e32 v1, 0
	s_waitcnt vmcnt(0)
	v_pk_add_f32 v[6:7], v[2:3], v[6:7]
	s_branch .LBB6_13
.LBB6_12:                               ;   in Loop: Header=BB6_13 Depth=1
	s_or_b64 exec, exec, s[2:3]
	s_and_b32 s0, s13, 31
	s_lshr_b32 s1, s13, 5
	s_cmp_eq_u32 s1, 0
	s_cselect_b64 vcc, -1, 0
	s_cmp_eq_u32 s1, 1
	v_cndmask_b32_e32 v9, v0, v8, vcc
	s_cselect_b64 vcc, -1, 0
	v_cndmask_b32_e32 v8, v1, v8, vcc
	v_cmp_eq_u32_e32 vcc, s0, v14
	v_cndmask_b32_e32 v1, v1, v8, vcc
	v_cndmask_b32_e32 v0, v0, v9, vcc
	s_add_i32 s13, s13, 1
	v_add_co_u32_e32 v4, vcc, 4, v4
	s_cmp_eq_u32 s17, s13
	v_addc_co_u32_e32 v5, vcc, 0, v5, vcc
	s_cbranch_scc1 .LBB6_33
.LBB6_13:                               ; =>This Inner Loop Header: Depth=1
	v_cmp_gt_f32_e32 vcc, v7, v6
	v_cndmask_b32_e32 v24, v6, v7, vcc
	v_cndmask_b32_e32 v25, v14, v15, vcc
	;; [unrolled: 1-line block ×3, first 2 shown]
	ds_bpermute_b32 v27, v19, v24
	ds_bpermute_b32 v26, v19, v25
	;; [unrolled: 1-line block ×3, first 2 shown]
                                        ; implicit-def: $vgpr8_vgpr9
	s_waitcnt lgkmcnt(2)
	v_cmp_lt_f32_e64 s[2:3], v24, v27
	v_cmp_nlt_f32_e32 vcc, v24, v27
	s_and_saveexec_b64 s[8:9], vcc
	s_cbranch_execz .LBB6_15
; %bb.14:                               ;   in Loop: Header=BB6_13 Depth=1
	v_cmp_eq_f32_e32 vcc, v24, v27
	s_waitcnt lgkmcnt(1)
	v_cmp_lt_i32_e64 s[0:1], v26, v25
	s_and_b64 s[0:1], vcc, s[0:1]
	s_andn2_b64 s[2:3], s[2:3], exec
	s_and_b64 s[0:1], s[0:1], exec
	s_or_b64 s[2:3], s[2:3], s[0:1]
	v_pk_mov_b32 v[8:9], v[10:11], v[10:11] op_sel:[0,1]
.LBB6_15:                               ;   in Loop: Header=BB6_13 Depth=1
	s_or_b64 exec, exec, s[8:9]
	s_and_saveexec_b64 s[0:1], s[2:3]
	s_cbranch_execz .LBB6_17
; %bb.16:                               ;   in Loop: Header=BB6_13 Depth=1
	v_mov_b32_e32 v24, v27
	s_waitcnt lgkmcnt(0)
	v_mov_b32_e32 v10, v12
	v_mov_b32_e32 v25, v26
	v_pk_mov_b32 v[8:9], v[12:13], v[12:13] op_sel:[0,1]
.LBB6_17:                               ;   in Loop: Header=BB6_13 Depth=1
	s_or_b64 exec, exec, s[0:1]
	s_waitcnt lgkmcnt(1)
	ds_bpermute_b32 v26, v20, v24
	s_waitcnt lgkmcnt(1)
	ds_bpermute_b32 v12, v20, v10
	ds_bpermute_b32 v9, v20, v25
	s_waitcnt lgkmcnt(2)
	v_cmp_lt_f32_e64 s[2:3], v24, v26
	v_cmp_nlt_f32_e32 vcc, v24, v26
	s_and_saveexec_b64 s[8:9], vcc
	s_cbranch_execz .LBB6_19
; %bb.18:                               ;   in Loop: Header=BB6_13 Depth=1
	v_cmp_eq_f32_e32 vcc, v24, v26
	s_waitcnt lgkmcnt(0)
	v_cmp_lt_i32_e64 s[0:1], v9, v25
	s_and_b64 s[0:1], vcc, s[0:1]
	s_andn2_b64 s[2:3], s[2:3], exec
	s_and_b64 s[0:1], s[0:1], exec
	s_or_b64 s[2:3], s[2:3], s[0:1]
.LBB6_19:                               ;   in Loop: Header=BB6_13 Depth=1
	s_or_b64 exec, exec, s[8:9]
	s_and_saveexec_b64 s[0:1], s[2:3]
	s_cbranch_execz .LBB6_21
; %bb.20:                               ;   in Loop: Header=BB6_13 Depth=1
	v_mov_b32_e32 v24, v26
	s_waitcnt lgkmcnt(1)
	v_mov_b32_e32 v10, v12
	s_waitcnt lgkmcnt(0)
	v_mov_b32_e32 v25, v9
	v_pk_mov_b32 v[8:9], v[12:13], v[12:13] op_sel:[0,1]
.LBB6_21:                               ;   in Loop: Header=BB6_13 Depth=1
	s_or_b64 exec, exec, s[0:1]
	ds_bpermute_b32 v26, v21, v24
	s_waitcnt lgkmcnt(2)
	ds_bpermute_b32 v12, v21, v10
	s_waitcnt lgkmcnt(2)
	;; [unrolled: 2-line block ×3, first 2 shown]
	v_cmp_lt_f32_e64 s[2:3], v24, v26
	v_cmp_nlt_f32_e32 vcc, v24, v26
	s_and_saveexec_b64 s[8:9], vcc
	s_cbranch_execz .LBB6_23
; %bb.22:                               ;   in Loop: Header=BB6_13 Depth=1
	v_cmp_eq_f32_e32 vcc, v24, v26
	s_waitcnt lgkmcnt(0)
	v_cmp_lt_i32_e64 s[0:1], v9, v25
	s_and_b64 s[0:1], vcc, s[0:1]
	s_andn2_b64 s[2:3], s[2:3], exec
	s_and_b64 s[0:1], s[0:1], exec
	s_or_b64 s[2:3], s[2:3], s[0:1]
.LBB6_23:                               ;   in Loop: Header=BB6_13 Depth=1
	s_or_b64 exec, exec, s[8:9]
	s_and_saveexec_b64 s[0:1], s[2:3]
	s_cbranch_execz .LBB6_25
; %bb.24:                               ;   in Loop: Header=BB6_13 Depth=1
	v_mov_b32_e32 v24, v26
	s_waitcnt lgkmcnt(1)
	v_mov_b32_e32 v10, v12
	s_waitcnt lgkmcnt(0)
	v_mov_b32_e32 v25, v9
	v_pk_mov_b32 v[8:9], v[12:13], v[12:13] op_sel:[0,1]
.LBB6_25:                               ;   in Loop: Header=BB6_13 Depth=1
	s_or_b64 exec, exec, s[0:1]
	ds_bpermute_b32 v26, v22, v24
	s_waitcnt lgkmcnt(2)
	ds_bpermute_b32 v12, v22, v10
	s_waitcnt lgkmcnt(2)
	;; [unrolled: 2-line block ×3, first 2 shown]
	v_cmp_lt_f32_e64 s[2:3], v24, v26
	v_cmp_nlt_f32_e32 vcc, v24, v26
	s_and_saveexec_b64 s[8:9], vcc
	s_cbranch_execz .LBB6_27
; %bb.26:                               ;   in Loop: Header=BB6_13 Depth=1
	v_cmp_eq_f32_e32 vcc, v24, v26
	s_waitcnt lgkmcnt(0)
	v_cmp_lt_i32_e64 s[0:1], v9, v25
	s_and_b64 s[0:1], vcc, s[0:1]
	s_andn2_b64 s[2:3], s[2:3], exec
	s_and_b64 s[0:1], s[0:1], exec
	s_or_b64 s[2:3], s[2:3], s[0:1]
.LBB6_27:                               ;   in Loop: Header=BB6_13 Depth=1
	s_or_b64 exec, exec, s[8:9]
	s_and_saveexec_b64 s[0:1], s[2:3]
	s_cbranch_execz .LBB6_29
; %bb.28:                               ;   in Loop: Header=BB6_13 Depth=1
	v_mov_b32_e32 v24, v26
	s_waitcnt lgkmcnt(1)
	v_mov_b32_e32 v10, v12
	s_waitcnt lgkmcnt(0)
	v_mov_b32_e32 v25, v9
	v_pk_mov_b32 v[8:9], v[12:13], v[12:13] op_sel:[0,1]
.LBB6_29:                               ;   in Loop: Header=BB6_13 Depth=1
	s_or_b64 exec, exec, s[0:1]
	s_waitcnt lgkmcnt(0)
	ds_bpermute_b32 v9, v23, v24
	ds_bpermute_b32 v12, v23, v25
	;; [unrolled: 1-line block ×3, first 2 shown]
	s_waitcnt lgkmcnt(2)
	v_cmp_eq_f32_e64 s[0:1], v24, v9
	s_waitcnt lgkmcnt(1)
	v_cmp_lt_i32_e64 s[2:3], v12, v25
	v_cmp_lt_f32_e32 vcc, v24, v9
	s_and_b64 s[0:1], s[0:1], s[2:3]
	s_or_b64 vcc, vcc, s[0:1]
	v_cndmask_b32_e32 v9, v25, v12, vcc
	v_and_b32_e32 v12, 31, v9
	v_cmp_eq_u32_e64 s[0:1], v12, v14
	s_and_saveexec_b64 s[8:9], s[0:1]
; %bb.30:                               ;   in Loop: Header=BB6_13 Depth=1
	v_ashrrev_i32_e32 v12, 31, v9
	v_lshrrev_b32_e32 v12, 27, v12
	v_add_u32_e32 v12, v9, v12
	v_ashrrev_i32_e32 v12, 5, v12
	v_cmp_ne_u32_e64 s[2:3], 1, v12
	v_cndmask_b32_e64 v7, v18, v7, s[2:3]
	v_cmp_ne_u32_e64 s[2:3], 0, v12
	v_cndmask_b32_e64 v6, v18, v6, s[2:3]
; %bb.31:                               ;   in Loop: Header=BB6_13 Depth=1
	s_or_b64 exec, exec, s[8:9]
	s_waitcnt lgkmcnt(0)
	v_cndmask_b32_e32 v8, v8, v10, vcc
	s_and_saveexec_b64 s[2:3], s[0:1]
	s_cbranch_execz .LBB6_12
; %bb.32:                               ;   in Loop: Header=BB6_13 Depth=1
	v_add_f32_e32 v10, v17, v8
	v_cndmask_b32_e64 v17, v17, v10, s[6:7]
	global_store_dword v[4:5], v9, off
	s_branch .LBB6_12
.LBB6_33:
	s_and_b64 vcc, exec, s[6:7]
	s_cbranch_vccz .LBB6_35
; %bb.34:
	s_waitcnt vmcnt(1)
	v_mbcnt_hi_u32_b32 v2, -1, v16
	s_waitcnt vmcnt(0)
	v_and_b32_e32 v3, 0x60, v2
	v_add_u32_e32 v3, 32, v3
	v_xor_b32_e32 v4, 16, v2
	v_cmp_lt_i32_e32 vcc, v4, v3
	v_cndmask_b32_e32 v4, v2, v4, vcc
	v_lshlrev_b32_e32 v4, 2, v4
	ds_bpermute_b32 v4, v4, v17
	v_xor_b32_e32 v5, 8, v2
	v_cmp_lt_i32_e32 vcc, v5, v3
	v_cndmask_b32_e32 v5, v2, v5, vcc
	v_lshlrev_b32_e32 v5, 2, v5
	s_waitcnt lgkmcnt(0)
	v_add_f32_e32 v4, v17, v4
	ds_bpermute_b32 v5, v5, v4
	v_xor_b32_e32 v6, 4, v2
	v_cmp_lt_i32_e32 vcc, v6, v3
	s_waitcnt lgkmcnt(0)
	v_add_f32_e32 v4, v4, v5
	v_cndmask_b32_e32 v5, v2, v6, vcc
	v_lshlrev_b32_e32 v5, 2, v5
	ds_bpermute_b32 v5, v5, v4
	v_xor_b32_e32 v6, 2, v2
	v_cmp_lt_i32_e32 vcc, v6, v3
	s_waitcnt lgkmcnt(0)
	v_add_f32_e32 v4, v4, v5
	v_cndmask_b32_e32 v5, v2, v6, vcc
	v_lshlrev_b32_e32 v5, 2, v5
	ds_bpermute_b32 v5, v5, v4
	v_xor_b32_e32 v6, 1, v2
	v_cmp_lt_i32_e32 vcc, v6, v3
	v_cndmask_b32_e32 v2, v2, v6, vcc
	v_lshlrev_b32_e32 v2, 2, v2
	s_waitcnt lgkmcnt(0)
	v_add_f32_e32 v4, v4, v5
	ds_bpermute_b32 v2, v2, v4
	v_max_f32_e64 v3, s18, s18
	s_waitcnt lgkmcnt(0)
	v_add_f32_e32 v2, v4, v2
	v_max_f32_e32 v2, v2, v3
	v_div_scale_f32 v3, s[0:1], v2, v2, 1.0
	v_rcp_f32_e32 v4, v3
	v_div_scale_f32 v5, vcc, 1.0, v2, 1.0
	v_fma_f32 v6, -v3, v4, 1.0
	v_fmac_f32_e32 v4, v6, v4
	v_mul_f32_e32 v6, v5, v4
	v_fma_f32 v7, -v3, v6, v5
	v_fmac_f32_e32 v6, v7, v4
	v_fma_f32 v3, -v3, v6, v5
	v_div_fmas_f32 v3, v3, v4, v6
	v_div_fixup_f32 v2, v3, v2, 1.0
	v_pk_mul_f32 v[0:1], v[2:3], v[0:1] op_sel_hi:[0,1]
.LBB6_35:
	s_andn2_b64 vcc, exec, s[4:5]
	v_cmp_gt_i32_e64 s[0:1], s17, v15
	v_cmp_gt_i32_e64 s[2:3], s17, v14
	s_cbranch_vccnz .LBB6_37
; %bb.36:
	s_waitcnt vmcnt(1)
	v_max_f32_e32 v2, v0, v0
	v_max_f32_e32 v2, 0xff800000, v2
	s_waitcnt vmcnt(0)
	v_mov_b32_e32 v3, 0xff800000
	v_cndmask_b32_e64 v2, v3, v2, s[2:3]
	v_max_f32_e32 v3, v1, v1
	v_max_f32_e32 v3, v2, v3
	v_cndmask_b32_e64 v2, v2, v3, s[0:1]
	v_mbcnt_hi_u32_b32 v3, -1, v16
	v_and_b32_e32 v4, 0x60, v3
	v_add_u32_e32 v4, 32, v4
	v_xor_b32_e32 v5, 16, v3
	v_cmp_lt_i32_e32 vcc, v5, v4
	v_cndmask_b32_e32 v5, v3, v5, vcc
	v_lshlrev_b32_e32 v5, 2, v5
	ds_bpermute_b32 v6, v5, v2
	s_mov_b32 s4, 0x3fb8aa3b
	s_mov_b32 s5, 0xc2ce8ed0
	;; [unrolled: 1-line block ×3, first 2 shown]
	s_waitcnt lgkmcnt(0)
	v_max_f32_e32 v6, v6, v6
	v_max_f32_e32 v2, v2, v6
	v_xor_b32_e32 v6, 8, v3
	v_cmp_lt_i32_e32 vcc, v6, v4
	v_cndmask_b32_e32 v6, v3, v6, vcc
	v_lshlrev_b32_e32 v6, 2, v6
	ds_bpermute_b32 v7, v6, v2
	s_waitcnt lgkmcnt(0)
	v_max_f32_e32 v7, v7, v7
	v_max_f32_e32 v2, v2, v7
	v_xor_b32_e32 v7, 4, v3
	v_cmp_lt_i32_e32 vcc, v7, v4
	v_cndmask_b32_e32 v7, v3, v7, vcc
	v_lshlrev_b32_e32 v7, 2, v7
	ds_bpermute_b32 v8, v7, v2
	;; [unrolled: 8-line block ×4, first 2 shown]
	s_waitcnt lgkmcnt(0)
	v_max_f32_e32 v4, v4, v4
	v_max_f32_e32 v2, v2, v4
	v_sub_f32_e32 v0, v0, v2
	v_mul_f32_e32 v4, 0x3fb8aa3b, v0
	v_fma_f32 v9, v0, s4, -v4
	v_rndne_f32_e32 v10, v4
	v_sub_f32_e32 v1, v1, v2
	v_fmac_f32_e32 v9, 0x32a5705f, v0
	v_sub_f32_e32 v4, v4, v10
	v_mul_f32_e32 v2, 0x3fb8aa3b, v1
	v_add_f32_e32 v4, v4, v9
	v_cvt_i32_f32_e32 v9, v10
	v_fma_f32 v10, v1, s4, -v2
	v_rndne_f32_e32 v12, v2
	v_exp_f32_e32 v4, v4
	v_fmac_f32_e32 v10, 0x32a5705f, v1
	v_sub_f32_e32 v2, v2, v12
	v_add_f32_e32 v2, v2, v10
	v_exp_f32_e32 v2, v2
	v_cvt_i32_f32_e32 v10, v12
	v_ldexp_f32 v4, v4, v9
	v_cmp_ngt_f32_e32 vcc, s5, v0
	v_cndmask_b32_e32 v4, 0, v4, vcc
	v_mov_b32_e32 v9, 0x7f800000
	v_cmp_nlt_f32_e32 vcc, s6, v0
	v_cndmask_b32_e32 v0, v9, v4, vcc
	v_ldexp_f32 v2, v2, v10
	v_cmp_ngt_f32_e32 vcc, s5, v1
	v_cndmask_b32_e32 v2, 0, v2, vcc
	v_cmp_nlt_f32_e32 vcc, s6, v1
	v_cndmask_b32_e64 v0, 0, v0, s[2:3]
	v_cndmask_b32_e32 v1, v9, v2, vcc
	v_add_f32_e32 v2, v1, v0
	v_cndmask_b32_e64 v2, v0, v2, s[0:1]
	ds_bpermute_b32 v4, v5, v2
	v_cndmask_b32_e64 v1, 0, v1, s[0:1]
	s_waitcnt lgkmcnt(0)
	v_add_f32_e32 v2, v2, v4
	ds_bpermute_b32 v4, v6, v2
	s_waitcnt lgkmcnt(0)
	v_add_f32_e32 v2, v2, v4
	ds_bpermute_b32 v4, v7, v2
	;; [unrolled: 3-line block ×4, first 2 shown]
	s_waitcnt lgkmcnt(0)
	v_add_f32_e32 v2, v2, v3
	v_div_scale_f32 v3, s[4:5], v2, v2, 1.0
	v_rcp_f32_e32 v4, v3
	v_fma_f32 v5, -v3, v4, 1.0
	v_fmac_f32_e32 v4, v5, v4
	v_div_scale_f32 v5, vcc, 1.0, v2, 1.0
	v_mul_f32_e32 v6, v5, v4
	v_fma_f32 v7, -v3, v6, v5
	v_fmac_f32_e32 v6, v7, v4
	v_fma_f32 v3, -v3, v6, v5
	v_div_fmas_f32 v3, v3, v4, v6
	v_div_fixup_f32 v2, v3, v2, 1.0
	v_mul_f32_e32 v3, v0, v2
	v_mul_f32_e32 v2, v1, v2
	v_cndmask_b32_e64 v0, v0, v3, s[2:3]
	v_cndmask_b32_e64 v1, v1, v2, s[0:1]
.LBB6_37:
	s_waitcnt vmcnt(1)
	v_mul_lo_u32 v2, v13, s17
	s_waitcnt vmcnt(0)
	v_ashrrev_i32_e32 v3, 31, v2
	v_lshlrev_b64 v[2:3], 2, v[2:3]
	v_mov_b32_e32 v4, s11
	v_add_co_u32_e32 v2, vcc, s10, v2
	v_addc_co_u32_e32 v3, vcc, v4, v3, vcc
	v_cmp_gt_i32_e32 vcc, s17, v14
	s_and_saveexec_b64 s[0:1], vcc
	s_cbranch_execz .LBB6_39
; %bb.38:
	v_add_co_u32_e32 v4, vcc, v2, v11
	v_addc_co_u32_e32 v5, vcc, 0, v3, vcc
	v_mul_f32_e32 v0, s19, v0
	global_store_dword v[4:5], v0, off
.LBB6_39:
	s_or_b64 exec, exec, s[0:1]
	v_cmp_gt_i32_e32 vcc, s17, v15
	s_and_b64 exec, exec, vcc
	s_cbranch_execz .LBB6_41
; %bb.40:
	v_add_co_u32_e32 v2, vcc, v2, v11
	v_addc_co_u32_e32 v3, vcc, 0, v3, vcc
	v_mul_f32_e32 v0, s19, v1
	global_store_dword v[2:3], v0, off offset:128
.LBB6_41:
	s_endpgm
	.section	.rodata,"a",@progbits
	.p2align	6, 0x0
	.amdhsa_kernel _Z13topk_moe_cudaILi64ELb1EEvPKfPfPiS2_iiff15topk_moe_config
		.amdhsa_group_segment_fixed_size 0
		.amdhsa_private_segment_fixed_size 0
		.amdhsa_kernarg_size 312
		.amdhsa_user_sgpr_count 6
		.amdhsa_user_sgpr_private_segment_buffer 1
		.amdhsa_user_sgpr_dispatch_ptr 0
		.amdhsa_user_sgpr_queue_ptr 0
		.amdhsa_user_sgpr_kernarg_segment_ptr 1
		.amdhsa_user_sgpr_dispatch_id 0
		.amdhsa_user_sgpr_flat_scratch_init 0
		.amdhsa_user_sgpr_kernarg_preload_length 0
		.amdhsa_user_sgpr_kernarg_preload_offset 0
		.amdhsa_user_sgpr_private_segment_size 0
		.amdhsa_uses_dynamic_stack 0
		.amdhsa_system_sgpr_private_segment_wavefront_offset 0
		.amdhsa_system_sgpr_workgroup_id_x 1
		.amdhsa_system_sgpr_workgroup_id_y 0
		.amdhsa_system_sgpr_workgroup_id_z 0
		.amdhsa_system_sgpr_workgroup_info 0
		.amdhsa_system_vgpr_workitem_id 1
		.amdhsa_next_free_vgpr 28
		.amdhsa_next_free_sgpr 20
		.amdhsa_accum_offset 28
		.amdhsa_reserve_vcc 1
		.amdhsa_reserve_flat_scratch 0
		.amdhsa_float_round_mode_32 0
		.amdhsa_float_round_mode_16_64 0
		.amdhsa_float_denorm_mode_32 3
		.amdhsa_float_denorm_mode_16_64 3
		.amdhsa_dx10_clamp 1
		.amdhsa_ieee_mode 1
		.amdhsa_fp16_overflow 0
		.amdhsa_tg_split 0
		.amdhsa_exception_fp_ieee_invalid_op 0
		.amdhsa_exception_fp_denorm_src 0
		.amdhsa_exception_fp_ieee_div_zero 0
		.amdhsa_exception_fp_ieee_overflow 0
		.amdhsa_exception_fp_ieee_underflow 0
		.amdhsa_exception_fp_ieee_inexact 0
		.amdhsa_exception_int_div_zero 0
	.end_amdhsa_kernel
	.section	.text._Z13topk_moe_cudaILi64ELb1EEvPKfPfPiS2_iiff15topk_moe_config,"axG",@progbits,_Z13topk_moe_cudaILi64ELb1EEvPKfPfPiS2_iiff15topk_moe_config,comdat
.Lfunc_end6:
	.size	_Z13topk_moe_cudaILi64ELb1EEvPKfPfPiS2_iiff15topk_moe_config, .Lfunc_end6-_Z13topk_moe_cudaILi64ELb1EEvPKfPfPiS2_iiff15topk_moe_config
                                        ; -- End function
	.section	.AMDGPU.csdata,"",@progbits
; Kernel info:
; codeLenInByte = 3228
; NumSgprs: 24
; NumVgprs: 28
; NumAgprs: 0
; TotalNumVgprs: 28
; ScratchSize: 0
; MemoryBound: 0
; FloatMode: 240
; IeeeMode: 1
; LDSByteSize: 0 bytes/workgroup (compile time only)
; SGPRBlocks: 2
; VGPRBlocks: 3
; NumSGPRsForWavesPerEU: 24
; NumVGPRsForWavesPerEU: 28
; AccumOffset: 28
; Occupancy: 8
; WaveLimiterHint : 1
; COMPUTE_PGM_RSRC2:SCRATCH_EN: 0
; COMPUTE_PGM_RSRC2:USER_SGPR: 6
; COMPUTE_PGM_RSRC2:TRAP_HANDLER: 0
; COMPUTE_PGM_RSRC2:TGID_X_EN: 1
; COMPUTE_PGM_RSRC2:TGID_Y_EN: 0
; COMPUTE_PGM_RSRC2:TGID_Z_EN: 0
; COMPUTE_PGM_RSRC2:TIDIG_COMP_CNT: 1
; COMPUTE_PGM_RSRC3_GFX90A:ACCUM_OFFSET: 6
; COMPUTE_PGM_RSRC3_GFX90A:TG_SPLIT: 0
	.section	.text._Z13topk_moe_cudaILi128ELb1EEvPKfPfPiS2_iiff15topk_moe_config,"axG",@progbits,_Z13topk_moe_cudaILi128ELb1EEvPKfPfPiS2_iiff15topk_moe_config,comdat
	.protected	_Z13topk_moe_cudaILi128ELb1EEvPKfPfPiS2_iiff15topk_moe_config ; -- Begin function _Z13topk_moe_cudaILi128ELb1EEvPKfPfPiS2_iiff15topk_moe_config
	.globl	_Z13topk_moe_cudaILi128ELb1EEvPKfPfPiS2_iiff15topk_moe_config
	.p2align	8
	.type	_Z13topk_moe_cudaILi128ELb1EEvPKfPfPiS2_iiff15topk_moe_config,@function
_Z13topk_moe_cudaILi128ELb1EEvPKfPfPiS2_iiff15topk_moe_config: ; @_Z13topk_moe_cudaILi128ELb1EEvPKfPfPiS2_iiff15topk_moe_config
; %bb.0:
	s_load_dword s0, s[4:5], 0x44
	s_load_dwordx4 s[16:19], s[4:5], 0x20
	v_bfe_u32 v1, v0, 10, 10
	s_waitcnt lgkmcnt(0)
	s_lshr_b32 s0, s0, 16
	s_mul_i32 s6, s6, s0
	v_add_u32_e32 v19, s6, v1
	v_cmp_gt_i32_e32 vcc, s16, v19
	s_and_saveexec_b64 s[0:1], vcc
	s_cbranch_execz .LBB7_38
; %bb.1:
	s_load_dwordx8 s[8:15], s[4:5], 0x0
	v_lshlrev_b32_e32 v2, 7, v19
	v_ashrrev_i32_e32 v3, 31, v2
	v_mov_b32_e32 v1, 0
	v_lshlrev_b64 v[4:5], 2, v[2:3]
	global_load_ushort v10, v1, s[4:5] offset:48
	s_waitcnt lgkmcnt(0)
	v_mov_b32_e32 v1, s9
	v_add_co_u32_e32 v2, vcc, s8, v4
	v_and_b32_e32 v20, 0x3ff, v0
	v_addc_co_u32_e32 v1, vcc, v1, v5, vcc
	v_lshlrev_b32_e32 v17, 2, v20
	v_add_co_u32_e32 v0, vcc, v2, v17
	v_addc_co_u32_e32 v1, vcc, 0, v1, vcc
	global_load_dword v8, v[0:1], off
	global_load_dword v9, v[0:1], off offset:128
	global_load_dword v6, v[0:1], off offset:256
	;; [unrolled: 1-line block ×3, first 2 shown]
	s_load_dword s0, s[4:5], 0x30
	s_waitcnt lgkmcnt(0)
	s_bitcmp1_b32 s0, 16
	s_cselect_b64 s[4:5], -1, 0
	s_and_b64 vcc, exec, s[4:5]
	s_cbranch_vccnz .LBB7_7
; %bb.2:
	s_waitcnt vmcnt(4)
	v_and_b32_e32 v0, 1, v10
	v_cmp_eq_u32_e32 vcc, 0, v0
	s_cbranch_vccz .LBB7_4
; %bb.3:
	v_mbcnt_lo_u32_b32 v1, -1, 0
	v_mbcnt_hi_u32_b32 v1, -1, v1
	v_and_b32_e32 v2, 0x60, v1
	v_add_u32_e32 v2, 32, v2
	v_xor_b32_e32 v3, 16, v1
	s_mov_b32 s0, 0xff800000
	v_cmp_lt_i32_e32 vcc, v3, v2
	s_waitcnt vmcnt(2)
	v_max3_f32 v0, v8, s0, v9
	v_cndmask_b32_e32 v3, v1, v3, vcc
	s_waitcnt vmcnt(0)
	v_max3_f32 v0, v0, v6, v7
	v_lshlrev_b32_e32 v11, 2, v3
	ds_bpermute_b32 v3, v11, v0
	s_mov_b32 s0, 0x3fb8aa3b
	s_mov_b32 s1, 0xc2ce8ed0
	;; [unrolled: 1-line block ×3, first 2 shown]
	s_waitcnt lgkmcnt(0)
	v_max_f32_e32 v3, v3, v3
	v_max_f32_e32 v0, v0, v3
	v_xor_b32_e32 v3, 8, v1
	v_cmp_lt_i32_e32 vcc, v3, v2
	v_cndmask_b32_e32 v3, v1, v3, vcc
	v_lshlrev_b32_e32 v14, 2, v3
	ds_bpermute_b32 v3, v14, v0
	s_waitcnt lgkmcnt(0)
	v_max_f32_e32 v3, v3, v3
	v_max_f32_e32 v0, v0, v3
	v_xor_b32_e32 v3, 4, v1
	v_cmp_lt_i32_e32 vcc, v3, v2
	v_cndmask_b32_e32 v3, v1, v3, vcc
	v_lshlrev_b32_e32 v15, 2, v3
	ds_bpermute_b32 v3, v15, v0
	;; [unrolled: 8-line block ×4, first 2 shown]
	s_waitcnt lgkmcnt(0)
	v_max_f32_e32 v1, v1, v1
	v_max_f32_e32 v0, v0, v1
	v_pk_add_f32 v[2:3], v[8:9], v[0:1] op_sel_hi:[1,0] neg_lo:[0,1] neg_hi:[0,1]
	v_mul_f32_e32 v1, 0x3fb8aa3b, v3
	v_fma_f32 v12, v3, s0, -v1
	v_rndne_f32_e32 v13, v1
	v_fmac_f32_e32 v12, 0x32a5705f, v3
	v_sub_f32_e32 v1, v1, v13
	v_add_f32_e32 v1, v1, v12
	v_exp_f32_e32 v1, v1
	v_cvt_i32_f32_e32 v12, v13
	v_cmp_ngt_f32_e32 vcc, s1, v3
	v_ldexp_f32 v1, v1, v12
	v_mul_f32_e32 v12, 0x3fb8aa3b, v2
	v_fma_f32 v13, v2, s0, -v12
	v_rndne_f32_e32 v21, v12
	v_fmac_f32_e32 v13, 0x32a5705f, v2
	v_sub_f32_e32 v12, v12, v21
	v_add_f32_e32 v12, v12, v13
	v_exp_f32_e32 v12, v12
	v_cvt_i32_f32_e32 v13, v21
	v_cndmask_b32_e32 v1, 0, v1, vcc
	v_mov_b32_e32 v21, 0x7f800000
	v_cmp_nlt_f32_e32 vcc, s2, v3
	v_cndmask_b32_e32 v1, v21, v1, vcc
	v_ldexp_f32 v3, v12, v13
	v_pk_add_f32 v[12:13], v[6:7], v[0:1] op_sel_hi:[1,0] neg_lo:[0,1] neg_hi:[0,1]
	v_mul_f32_e32 v0, 0x3fb8aa3b, v13
	v_fma_f32 v22, v13, s0, -v0
	v_rndne_f32_e32 v23, v0
	v_fmac_f32_e32 v22, 0x32a5705f, v13
	v_sub_f32_e32 v0, v0, v23
	v_add_f32_e32 v0, v0, v22
	v_exp_f32_e32 v22, v0
	v_cvt_i32_f32_e32 v23, v23
	v_cmp_ngt_f32_e32 vcc, s1, v2
	v_cndmask_b32_e32 v0, 0, v3, vcc
	v_mul_f32_e32 v3, 0x3fb8aa3b, v12
	v_cmp_nlt_f32_e32 vcc, s2, v2
	v_ldexp_f32 v2, v22, v23
	v_fma_f32 v22, v12, s0, -v3
	v_rndne_f32_e32 v23, v3
	v_fmac_f32_e32 v22, 0x32a5705f, v12
	v_sub_f32_e32 v3, v3, v23
	v_add_f32_e32 v3, v3, v22
	v_exp_f32_e32 v22, v3
	v_cvt_i32_f32_e32 v23, v23
	v_cndmask_b32_e32 v0, v21, v0, vcc
	v_cmp_ngt_f32_e32 vcc, s1, v13
	v_cndmask_b32_e32 v2, 0, v2, vcc
	v_cmp_nlt_f32_e32 vcc, s2, v13
	v_cndmask_b32_e32 v3, v21, v2, vcc
	v_ldexp_f32 v2, v22, v23
	v_cmp_ngt_f32_e32 vcc, s1, v12
	v_cndmask_b32_e32 v2, 0, v2, vcc
	v_cmp_nlt_f32_e32 vcc, s2, v12
	v_cndmask_b32_e32 v2, v21, v2, vcc
	v_add_f32_e32 v12, v0, v1
	v_add_f32_e32 v12, v2, v12
	;; [unrolled: 1-line block ×3, first 2 shown]
	ds_bpermute_b32 v11, v11, v12
	s_waitcnt lgkmcnt(0)
	v_add_f32_e32 v11, v12, v11
	ds_bpermute_b32 v12, v14, v11
	s_waitcnt lgkmcnt(0)
	v_add_f32_e32 v11, v11, v12
	;; [unrolled: 3-line block ×5, first 2 shown]
	v_div_scale_f32 v12, s[0:1], v11, v11, 1.0
	v_rcp_f32_e32 v13, v12
	v_fma_f32 v14, -v12, v13, 1.0
	v_fmac_f32_e32 v13, v14, v13
	v_div_scale_f32 v14, vcc, 1.0, v11, 1.0
	v_mul_f32_e32 v15, v14, v13
	v_fma_f32 v16, -v12, v15, v14
	v_fmac_f32_e32 v15, v16, v13
	v_fma_f32 v12, -v12, v15, v14
	v_div_fmas_f32 v12, v12, v13, v15
	v_div_fixup_f32 v12, v12, v11, 1.0
	v_pk_mul_f32 v[2:3], v[2:3], v[12:13] op_sel_hi:[1,0]
	v_pk_mul_f32 v[0:1], v[0:1], v[12:13] op_sel_hi:[1,0]
	s_cbranch_execz .LBB7_5
	s_branch .LBB7_6
.LBB7_4:
                                        ; implicit-def: $vgpr3
                                        ; implicit-def: $vgpr1
.LBB7_5:
	s_waitcnt vmcnt(2)
	v_mul_f32_e32 v0, 0xbfb8aa3b, v9
	s_mov_b32 s0, 0xbfb8aa3b
	v_rndne_f32_e32 v1, v0
	v_sub_f32_e32 v2, v0, v1
	v_fma_f32 v0, v9, s0, -v0
	v_fmac_f32_e32 v0, 0xb2a5705f, v9
	v_add_f32_e32 v0, v2, v0
	v_exp_f32_e32 v0, v0
	v_cvt_i32_f32_e32 v1, v1
	s_mov_b32 s1, 0x42ce8ed0
	v_cmp_nlt_f32_e32 vcc, s1, v9
	s_mov_b32 s2, 0xc2b17218
	v_ldexp_f32 v0, v0, v1
	v_mul_f32_e32 v1, 0xbfb8aa3b, v8
	v_rndne_f32_e32 v2, v1
	v_sub_f32_e32 v3, v1, v2
	v_fma_f32 v1, v8, s0, -v1
	v_fmac_f32_e32 v1, 0xb2a5705f, v8
	v_add_f32_e32 v1, v3, v1
	v_exp_f32_e32 v3, v1
	v_cvt_i32_f32_e32 v2, v2
	v_cndmask_b32_e32 v0, 0, v0, vcc
	v_mov_b32_e32 v11, 0x7f800000
	v_cmp_ngt_f32_e32 vcc, s2, v9
	v_cndmask_b32_e32 v1, v11, v0, vcc
	v_ldexp_f32 v0, v3, v2
	s_waitcnt vmcnt(0)
	v_mul_f32_e32 v2, 0xbfb8aa3b, v7
	v_rndne_f32_e32 v3, v2
	v_sub_f32_e32 v9, v2, v3
	v_fma_f32 v2, v7, s0, -v2
	v_fmac_f32_e32 v2, 0xb2a5705f, v7
	v_add_f32_e32 v2, v9, v2
	v_exp_f32_e32 v2, v2
	v_cvt_i32_f32_e32 v3, v3
	v_cmp_nlt_f32_e32 vcc, s1, v8
	v_cndmask_b32_e32 v0, 0, v0, vcc
	v_cmp_ngt_f32_e32 vcc, s2, v8
	v_ldexp_f32 v2, v2, v3
	v_mul_f32_e32 v3, 0xbfb8aa3b, v6
	v_rndne_f32_e32 v8, v3
	v_sub_f32_e32 v9, v3, v8
	v_fma_f32 v3, v6, s0, -v3
	v_fmac_f32_e32 v3, 0xb2a5705f, v6
	v_add_f32_e32 v3, v9, v3
	v_exp_f32_e32 v9, v3
	v_cvt_i32_f32_e32 v8, v8
	v_cndmask_b32_e32 v0, v11, v0, vcc
	v_cmp_nlt_f32_e32 vcc, s1, v7
	v_cndmask_b32_e32 v2, 0, v2, vcc
	v_cmp_ngt_f32_e32 vcc, s2, v7
	v_pk_add_f32 v[0:1], v[0:1], 1.0 op_sel_hi:[1,0]
	v_cndmask_b32_e32 v3, v11, v2, vcc
	v_cmp_nlt_f32_e32 vcc, s1, v6
	v_div_scale_f32 v7, s[0:1], v0, v0, 1.0
	v_ldexp_f32 v2, v9, v8
	v_rcp_f32_e32 v8, v7
	v_cndmask_b32_e32 v2, 0, v2, vcc
	v_cmp_ngt_f32_e32 vcc, s2, v6
	v_cndmask_b32_e32 v2, v11, v2, vcc
	v_fma_f32 v6, -v7, v8, 1.0
	v_fmac_f32_e32 v8, v6, v8
	v_div_scale_f32 v6, vcc, 1.0, v0, 1.0
	v_mul_f32_e32 v9, v6, v8
	v_fma_f32 v11, -v7, v9, v6
	v_fmac_f32_e32 v9, v11, v8
	v_fma_f32 v6, -v7, v9, v6
	v_div_scale_f32 v7, s[0:1], v1, v1, 1.0
	v_rcp_f32_e32 v11, v7
	v_div_fmas_f32 v6, v6, v8, v9
	v_div_fixup_f32 v0, v6, v0, 1.0
	v_pk_add_f32 v[2:3], v[2:3], 1.0 op_sel_hi:[1,0]
	v_fma_f32 v6, -v7, v11, 1.0
	v_fmac_f32_e32 v11, v6, v11
	v_div_scale_f32 v6, vcc, 1.0, v1, 1.0
	v_mul_f32_e32 v8, v6, v11
	v_fma_f32 v9, -v7, v8, v6
	v_fmac_f32_e32 v8, v9, v11
	v_fma_f32 v6, -v7, v8, v6
	v_div_scale_f32 v7, s[0:1], v2, v2, 1.0
	v_rcp_f32_e32 v9, v7
	v_div_fmas_f32 v6, v6, v11, v8
	v_div_fixup_f32 v1, v6, v1, 1.0
	v_fma_f32 v6, -v7, v9, 1.0
	v_fmac_f32_e32 v9, v6, v9
	v_div_scale_f32 v6, vcc, 1.0, v2, 1.0
	v_mul_f32_e32 v8, v6, v9
	v_fma_f32 v11, -v7, v8, v6
	v_fmac_f32_e32 v8, v11, v9
	v_fma_f32 v6, -v7, v8, v6
	v_div_scale_f32 v7, s[0:1], v3, v3, 1.0
	v_rcp_f32_e32 v11, v7
	v_div_fmas_f32 v6, v6, v9, v8
	v_div_fixup_f32 v2, v6, v2, 1.0
	v_fma_f32 v6, -v7, v11, 1.0
	v_fmac_f32_e32 v11, v6, v11
	v_div_scale_f32 v6, vcc, 1.0, v3, 1.0
	v_mul_f32_e32 v8, v6, v11
	v_fma_f32 v9, -v7, v8, v6
	v_fmac_f32_e32 v8, v9, v11
	v_fma_f32 v6, -v7, v8, v6
	v_div_fmas_f32 v6, v6, v11, v8
	v_div_fixup_f32 v3, v6, v3, 1.0
.LBB7_6:
	s_waitcnt vmcnt(3)
	v_mov_b32_e32 v8, v0
	s_waitcnt vmcnt(2)
	v_mov_b32_e32 v9, v1
	;; [unrolled: 2-line block ×4, first 2 shown]
.LBB7_7:
	s_waitcnt vmcnt(4)
	v_lshrrev_b16_e32 v0, 8, v10
	s_cmp_gt_i32 s17, 0
	v_readfirstlane_b32 s16, v0
	s_cbranch_scc1 .LBB7_9
; %bb.8:
	s_mov_b32 s0, 0
	s_bitcmp1_b32 s16, 0
	s_mov_b32 s1, s0
	s_mov_b32 s2, s0
	;; [unrolled: 1-line block ×3, first 2 shown]
	s_mov_b64 s[8:9], 0
	s_cselect_b64 s[6:7], -1, 0
	s_branch .LBB7_10
.LBB7_9:
	s_mov_b64 s[8:9], -1
                                        ; implicit-def: $sgpr0
                                        ; implicit-def: $sgpr6_sgpr7
.LBB7_10:
	v_pk_mov_b32 v[0:1], s[0:1], s[0:1] op_sel:[0,1]
	v_add_u32_e32 v23, 32, v20
	v_add_u32_e32 v22, 64, v20
	;; [unrolled: 1-line block ×3, first 2 shown]
	s_andn2_b64 vcc, exec, s[8:9]
	v_mov_b32_e32 v25, s0
	v_pk_mov_b32 v[2:3], s[2:3], s[2:3] op_sel:[0,1]
	v_mbcnt_lo_u32_b32 v24, -1, 0
	s_cbranch_vccnz .LBB7_29
; %bb.11:
	global_load_dword v10, v17, s[14:15] offset:256
	global_load_dword v11, v17, s[14:15] offset:384
	global_load_dword v12, v17, s[14:15]
	global_load_dword v13, v17, s[14:15] offset:128
	v_mov_b32_e32 v3, 0xff7fffff
	s_waitcnt vmcnt(7)
	v_cmp_o_f32_e32 vcc, v8, v8
	v_cndmask_b32_e32 v8, v3, v8, vcc
	s_waitcnt vmcnt(6)
	v_cmp_u_f32_e32 vcc, v9, v9
	v_cndmask_b32_e32 v9, v9, v3, vcc
	s_waitcnt vmcnt(5)
	v_cmp_o_f32_e32 vcc, v6, v6
	v_mbcnt_hi_u32_b32 v15, -1, v24
	v_cndmask_b32_e32 v6, v3, v6, vcc
	s_waitcnt vmcnt(4)
	v_cmp_o_f32_e32 vcc, v7, v7
	v_mov_b32_e32 v14, s13
	v_cndmask_b32_e32 v7, v3, v7, vcc
	v_add_co_u32_e32 v4, vcc, s12, v4
	v_and_b32_e32 v3, 0x60, v15
	v_addc_co_u32_e32 v5, vcc, v14, v5, vcc
	v_xor_b32_e32 v14, 16, v15
	v_add_u32_e32 v3, 32, v3
	v_xor_b32_e32 v16, 8, v15
	v_cmp_lt_i32_e32 vcc, v14, v3
	v_xor_b32_e32 v18, 4, v15
	v_cndmask_b32_e32 v14, v15, v14, vcc
	v_cmp_lt_i32_e32 vcc, v16, v3
	v_xor_b32_e32 v27, 2, v15
	v_cndmask_b32_e32 v16, v15, v16, vcc
	;; [unrolled: 3-line block ×3, first 2 shown]
	v_cmp_lt_i32_e32 vcc, v27, v3
	v_cndmask_b32_e32 v30, v15, v27, vcc
	v_cmp_lt_i32_e32 vcc, v28, v3
	s_bitcmp1_b32 s16, 0
	v_cndmask_b32_e32 v3, v15, v28, vcc
	s_mov_b32 s13, 0
	v_mov_b32_e32 v25, 0
	v_mov_b32_e32 v26, 0xff800000
	;; [unrolled: 1-line block ×5, first 2 shown]
	s_cselect_b64 s[6:7], -1, 0
	v_lshlrev_b32_e32 v27, 2, v14
	v_lshlrev_b32_e32 v28, 2, v16
	;; [unrolled: 1-line block ×5, first 2 shown]
	v_mov_b32_e32 v3, 0
	s_waitcnt vmcnt(2)
	v_pk_add_f32 v[10:11], v[6:7], v[10:11]
	s_waitcnt vmcnt(0)
	v_pk_add_f32 v[12:13], v[8:9], v[12:13]
	s_branch .LBB7_13
.LBB7_12:                               ;   in Loop: Header=BB7_13 Depth=1
	s_or_b64 exec, exec, s[2:3]
	s_and_b32 s0, s13, 31
	s_lshr_b32 s1, s13, 5
	s_cmp_eq_u32 s1, 0
	s_cselect_b64 vcc, -1, 0
	s_cmp_eq_u32 s1, 1
	v_cndmask_b32_e32 v15, v0, v14, vcc
	s_cselect_b64 vcc, -1, 0
	s_cmp_eq_u32 s1, 2
	v_cndmask_b32_e32 v16, v1, v14, vcc
	s_cselect_b64 vcc, -1, 0
	s_cmp_eq_u32 s1, 3
	v_cndmask_b32_e32 v18, v2, v14, vcc
	s_cselect_b64 vcc, -1, 0
	v_cndmask_b32_e32 v14, v3, v14, vcc
	v_cmp_eq_u32_e32 vcc, s0, v20
	v_cndmask_b32_e32 v3, v3, v14, vcc
	v_cndmask_b32_e32 v2, v2, v18, vcc
	;; [unrolled: 1-line block ×4, first 2 shown]
	s_add_i32 s13, s13, 1
	v_add_co_u32_e32 v4, vcc, 4, v4
	s_cmp_eq_u32 s17, s13
	v_addc_co_u32_e32 v5, vcc, 0, v5, vcc
	s_cbranch_scc1 .LBB7_29
.LBB7_13:                               ; =>This Inner Loop Header: Depth=1
	v_cmp_gt_f32_e32 vcc, v13, v12
	v_cndmask_b32_e32 v16, v12, v13, vcc
	v_cndmask_b32_e32 v14, v8, v9, vcc
	;; [unrolled: 1-line block ×3, first 2 shown]
	v_cmp_gt_f32_e32 vcc, v10, v16
	v_cndmask_b32_e32 v16, v16, v10, vcc
	v_cndmask_b32_e32 v14, v14, v6, vcc
	;; [unrolled: 1-line block ×3, first 2 shown]
	v_cmp_gt_f32_e32 vcc, v11, v16
	v_cndmask_b32_e32 v16, v16, v11, vcc
	v_cndmask_b32_e32 v15, v15, v21, vcc
	ds_bpermute_b32 v18, v27, v16
	ds_bpermute_b32 v32, v27, v15
	v_cndmask_b32_e32 v14, v14, v7, vcc
	ds_bpermute_b32 v34, v27, v14
	s_waitcnt lgkmcnt(2)
	v_cmp_eq_f32_e64 s[0:1], v16, v18
	s_waitcnt lgkmcnt(1)
	v_cmp_lt_i32_e64 s[2:3], v32, v15
	v_cmp_lt_f32_e32 vcc, v16, v18
	s_and_b64 s[0:1], s[0:1], s[2:3]
	s_or_b64 vcc, vcc, s[0:1]
	v_cndmask_b32_e32 v33, v15, v32, vcc
	v_cndmask_b32_e32 v32, v16, v18, vcc
	s_waitcnt lgkmcnt(0)
	v_cndmask_b32_e32 v16, v14, v34, vcc
	ds_bpermute_b32 v35, v28, v32
	ds_bpermute_b32 v18, v28, v16
	;; [unrolled: 1-line block ×3, first 2 shown]
                                        ; implicit-def: $vgpr14_vgpr15
	s_waitcnt lgkmcnt(2)
	v_cmp_lt_f32_e64 s[2:3], v32, v35
	v_cmp_nlt_f32_e32 vcc, v32, v35
	s_and_saveexec_b64 s[8:9], vcc
	s_cbranch_execz .LBB7_15
; %bb.14:                               ;   in Loop: Header=BB7_13 Depth=1
	v_cmp_eq_f32_e32 vcc, v32, v35
	s_waitcnt lgkmcnt(0)
	v_cmp_lt_i32_e64 s[0:1], v34, v33
	s_and_b64 s[0:1], vcc, s[0:1]
	s_andn2_b64 s[2:3], s[2:3], exec
	s_and_b64 s[0:1], s[0:1], exec
	s_or_b64 s[2:3], s[2:3], s[0:1]
	v_pk_mov_b32 v[14:15], v[16:17], v[16:17] op_sel:[0,1]
.LBB7_15:                               ;   in Loop: Header=BB7_13 Depth=1
	s_or_b64 exec, exec, s[8:9]
	s_and_saveexec_b64 s[0:1], s[2:3]
	s_cbranch_execz .LBB7_17
; %bb.16:                               ;   in Loop: Header=BB7_13 Depth=1
	v_mov_b32_e32 v32, v35
	s_waitcnt lgkmcnt(1)
	v_mov_b32_e32 v16, v18
	s_waitcnt lgkmcnt(0)
	v_mov_b32_e32 v33, v34
	v_pk_mov_b32 v[14:15], v[18:19], v[18:19] op_sel:[0,1]
.LBB7_17:                               ;   in Loop: Header=BB7_13 Depth=1
	s_or_b64 exec, exec, s[0:1]
	s_waitcnt lgkmcnt(0)
	ds_bpermute_b32 v34, v29, v32
	ds_bpermute_b32 v18, v29, v16
	;; [unrolled: 1-line block ×3, first 2 shown]
	s_waitcnt lgkmcnt(2)
	v_cmp_lt_f32_e64 s[2:3], v32, v34
	v_cmp_nlt_f32_e32 vcc, v32, v34
	s_and_saveexec_b64 s[8:9], vcc
	s_cbranch_execz .LBB7_19
; %bb.18:                               ;   in Loop: Header=BB7_13 Depth=1
	v_cmp_eq_f32_e32 vcc, v32, v34
	s_waitcnt lgkmcnt(0)
	v_cmp_lt_i32_e64 s[0:1], v15, v33
	s_and_b64 s[0:1], vcc, s[0:1]
	s_andn2_b64 s[2:3], s[2:3], exec
	s_and_b64 s[0:1], s[0:1], exec
	s_or_b64 s[2:3], s[2:3], s[0:1]
.LBB7_19:                               ;   in Loop: Header=BB7_13 Depth=1
	s_or_b64 exec, exec, s[8:9]
	s_and_saveexec_b64 s[0:1], s[2:3]
	s_cbranch_execz .LBB7_21
; %bb.20:                               ;   in Loop: Header=BB7_13 Depth=1
	v_mov_b32_e32 v32, v34
	s_waitcnt lgkmcnt(1)
	v_mov_b32_e32 v16, v18
	s_waitcnt lgkmcnt(0)
	v_mov_b32_e32 v33, v15
	v_pk_mov_b32 v[14:15], v[18:19], v[18:19] op_sel:[0,1]
.LBB7_21:                               ;   in Loop: Header=BB7_13 Depth=1
	s_or_b64 exec, exec, s[0:1]
	ds_bpermute_b32 v34, v30, v32
	s_waitcnt lgkmcnt(2)
	ds_bpermute_b32 v18, v30, v16
	s_waitcnt lgkmcnt(2)
	ds_bpermute_b32 v15, v30, v33
	s_waitcnt lgkmcnt(2)
	v_cmp_lt_f32_e64 s[2:3], v32, v34
	v_cmp_nlt_f32_e32 vcc, v32, v34
	s_and_saveexec_b64 s[8:9], vcc
	s_cbranch_execz .LBB7_23
; %bb.22:                               ;   in Loop: Header=BB7_13 Depth=1
	v_cmp_eq_f32_e32 vcc, v32, v34
	s_waitcnt lgkmcnt(0)
	v_cmp_lt_i32_e64 s[0:1], v15, v33
	s_and_b64 s[0:1], vcc, s[0:1]
	s_andn2_b64 s[2:3], s[2:3], exec
	s_and_b64 s[0:1], s[0:1], exec
	s_or_b64 s[2:3], s[2:3], s[0:1]
.LBB7_23:                               ;   in Loop: Header=BB7_13 Depth=1
	s_or_b64 exec, exec, s[8:9]
	s_and_saveexec_b64 s[0:1], s[2:3]
	s_cbranch_execz .LBB7_25
; %bb.24:                               ;   in Loop: Header=BB7_13 Depth=1
	v_mov_b32_e32 v32, v34
	s_waitcnt lgkmcnt(1)
	v_mov_b32_e32 v16, v18
	s_waitcnt lgkmcnt(0)
	v_mov_b32_e32 v33, v15
	v_pk_mov_b32 v[14:15], v[18:19], v[18:19] op_sel:[0,1]
.LBB7_25:                               ;   in Loop: Header=BB7_13 Depth=1
	s_or_b64 exec, exec, s[0:1]
	s_waitcnt lgkmcnt(0)
	ds_bpermute_b32 v15, v31, v32
	ds_bpermute_b32 v18, v31, v33
	;; [unrolled: 1-line block ×3, first 2 shown]
	s_waitcnt lgkmcnt(2)
	v_cmp_eq_f32_e64 s[0:1], v32, v15
	s_waitcnt lgkmcnt(1)
	v_cmp_lt_i32_e64 s[2:3], v18, v33
	v_cmp_lt_f32_e32 vcc, v32, v15
	s_and_b64 s[0:1], s[0:1], s[2:3]
	s_or_b64 vcc, vcc, s[0:1]
	v_cndmask_b32_e32 v15, v33, v18, vcc
	v_and_b32_e32 v18, 31, v15
	v_cmp_eq_u32_e64 s[0:1], v18, v20
	s_and_saveexec_b64 s[8:9], s[0:1]
	s_cbranch_execz .LBB7_27
; %bb.26:                               ;   in Loop: Header=BB7_13 Depth=1
	v_ashrrev_i32_e32 v18, 31, v15
	v_lshrrev_b32_e32 v18, 27, v18
	v_add_u32_e32 v18, v15, v18
	v_ashrrev_i32_e32 v18, 5, v18
	v_cmp_ne_u32_e64 s[2:3], 3, v18
	v_cndmask_b32_e64 v11, v26, v11, s[2:3]
	v_cmp_ne_u32_e64 s[2:3], 2, v18
	v_cndmask_b32_e64 v10, v26, v10, s[2:3]
	;; [unrolled: 2-line block ×4, first 2 shown]
.LBB7_27:                               ;   in Loop: Header=BB7_13 Depth=1
	s_or_b64 exec, exec, s[8:9]
	s_waitcnt lgkmcnt(0)
	v_cndmask_b32_e32 v14, v14, v16, vcc
	s_and_saveexec_b64 s[2:3], s[0:1]
	s_cbranch_execz .LBB7_12
; %bb.28:                               ;   in Loop: Header=BB7_13 Depth=1
	v_add_f32_e32 v16, v25, v14
	v_cndmask_b32_e64 v25, v25, v16, s[6:7]
	global_store_dword v[4:5], v15, off
	s_branch .LBB7_12
.LBB7_29:
	s_and_b64 vcc, exec, s[6:7]
	s_cbranch_vccz .LBB7_31
; %bb.30:
	v_mbcnt_hi_u32_b32 v4, -1, v24
	v_and_b32_e32 v5, 0x60, v4
	v_add_u32_e32 v5, 32, v5
	s_waitcnt vmcnt(1)
	v_xor_b32_e32 v6, 16, v4
	v_cmp_lt_i32_e32 vcc, v6, v5
	v_cndmask_b32_e32 v6, v4, v6, vcc
	v_lshlrev_b32_e32 v6, 2, v6
	ds_bpermute_b32 v6, v6, v25
	s_waitcnt vmcnt(0)
	v_xor_b32_e32 v7, 8, v4
	v_cmp_lt_i32_e32 vcc, v7, v5
	v_cndmask_b32_e32 v7, v4, v7, vcc
	v_lshlrev_b32_e32 v7, 2, v7
	s_waitcnt lgkmcnt(0)
	v_add_f32_e32 v6, v25, v6
	ds_bpermute_b32 v7, v7, v6
	v_xor_b32_e32 v8, 4, v4
	v_cmp_lt_i32_e32 vcc, v8, v5
	s_waitcnt lgkmcnt(0)
	v_add_f32_e32 v6, v6, v7
	v_cndmask_b32_e32 v7, v4, v8, vcc
	v_lshlrev_b32_e32 v7, 2, v7
	ds_bpermute_b32 v7, v7, v6
	v_xor_b32_e32 v8, 2, v4
	v_cmp_lt_i32_e32 vcc, v8, v5
	s_waitcnt lgkmcnt(0)
	v_add_f32_e32 v6, v6, v7
	v_cndmask_b32_e32 v7, v4, v8, vcc
	v_lshlrev_b32_e32 v7, 2, v7
	ds_bpermute_b32 v7, v7, v6
	v_xor_b32_e32 v8, 1, v4
	v_cmp_lt_i32_e32 vcc, v8, v5
	v_cndmask_b32_e32 v4, v4, v8, vcc
	v_lshlrev_b32_e32 v4, 2, v4
	s_waitcnt lgkmcnt(0)
	v_add_f32_e32 v6, v6, v7
	ds_bpermute_b32 v4, v4, v6
	v_max_f32_e64 v5, s18, s18
	s_waitcnt lgkmcnt(0)
	v_add_f32_e32 v4, v6, v4
	v_max_f32_e32 v4, v4, v5
	v_div_scale_f32 v5, s[0:1], v4, v4, 1.0
	v_rcp_f32_e32 v6, v5
	v_div_scale_f32 v7, vcc, 1.0, v4, 1.0
	v_fma_f32 v8, -v5, v6, 1.0
	v_fmac_f32_e32 v6, v8, v6
	v_mul_f32_e32 v8, v7, v6
	v_fma_f32 v9, -v5, v8, v7
	v_fmac_f32_e32 v8, v9, v6
	v_fma_f32 v5, -v5, v8, v7
	v_div_fmas_f32 v5, v5, v6, v8
	v_div_fixup_f32 v4, v5, v4, 1.0
	v_pk_mul_f32 v[2:3], v[4:5], v[2:3] op_sel_hi:[0,1]
	v_pk_mul_f32 v[0:1], v[4:5], v[0:1] op_sel_hi:[0,1]
.LBB7_31:
	s_andn2_b64 vcc, exec, s[4:5]
	v_cmp_gt_i32_e64 s[4:5], s17, v23
	v_cmp_gt_i32_e64 s[2:3], s17, v22
	;; [unrolled: 1-line block ×4, first 2 shown]
	s_cbranch_vccnz .LBB7_33
; %bb.32:
	v_max_f32_e32 v4, v0, v0
	v_max_f32_e32 v4, 0xff800000, v4
	v_mov_b32_e32 v5, 0xff800000
	v_cndmask_b32_e64 v4, v5, v4, s[6:7]
	v_max_f32_e32 v5, v1, v1
	v_max_f32_e32 v5, v4, v5
	v_cndmask_b32_e64 v4, v4, v5, s[4:5]
	v_max_f32_e32 v5, v2, v2
	v_max_f32_e32 v5, v4, v5
	;; [unrolled: 3-line block ×3, first 2 shown]
	v_cndmask_b32_e64 v4, v4, v5, s[0:1]
	v_mbcnt_hi_u32_b32 v5, -1, v24
	s_waitcnt vmcnt(1)
	v_and_b32_e32 v6, 0x60, v5
	v_add_u32_e32 v6, 32, v6
	s_waitcnt vmcnt(0)
	v_xor_b32_e32 v7, 16, v5
	v_cmp_lt_i32_e32 vcc, v7, v6
	v_cndmask_b32_e32 v7, v5, v7, vcc
	v_lshlrev_b32_e32 v7, 2, v7
	ds_bpermute_b32 v8, v7, v4
	s_mov_b32 s8, 0x3fb8aa3b
	s_mov_b32 s9, 0xc2ce8ed0
	;; [unrolled: 1-line block ×3, first 2 shown]
	v_cndmask_b32_e64 v3, v3, v3, s[4:5]
	s_waitcnt lgkmcnt(0)
	v_max_f32_e32 v8, v8, v8
	v_max_f32_e32 v4, v4, v8
	v_xor_b32_e32 v8, 8, v5
	v_cmp_lt_i32_e32 vcc, v8, v6
	v_cndmask_b32_e32 v8, v5, v8, vcc
	v_lshlrev_b32_e32 v8, 2, v8
	ds_bpermute_b32 v9, v8, v4
	s_waitcnt lgkmcnt(0)
	v_max_f32_e32 v9, v9, v9
	v_max_f32_e32 v4, v4, v9
	v_xor_b32_e32 v9, 4, v5
	v_cmp_lt_i32_e32 vcc, v9, v6
	v_cndmask_b32_e32 v9, v5, v9, vcc
	v_lshlrev_b32_e32 v9, 2, v9
	ds_bpermute_b32 v10, v9, v4
	;; [unrolled: 8-line block ×4, first 2 shown]
	s_waitcnt lgkmcnt(0)
	v_max_f32_e32 v6, v6, v6
	v_max_f32_e32 v4, v4, v6
	v_sub_f32_e32 v0, v0, v4
	v_mul_f32_e32 v6, 0x3fb8aa3b, v0
	v_fma_f32 v11, v0, s8, -v6
	v_rndne_f32_e32 v12, v6
	v_fmac_f32_e32 v11, 0x32a5705f, v0
	v_sub_f32_e32 v6, v6, v12
	v_sub_f32_e32 v1, v1, v4
	v_add_f32_e32 v6, v6, v11
	v_cvt_i32_f32_e32 v11, v12
	v_mul_f32_e32 v12, 0x3fb8aa3b, v1
	v_fma_f32 v13, v1, s8, -v12
	v_rndne_f32_e32 v14, v12
	v_exp_f32_e32 v6, v6
	v_fmac_f32_e32 v13, 0x32a5705f, v1
	v_sub_f32_e32 v12, v12, v14
	v_add_f32_e32 v12, v12, v13
	v_exp_f32_e32 v12, v12
	v_cvt_i32_f32_e32 v13, v14
	v_ldexp_f32 v6, v6, v11
	v_cmp_ngt_f32_e32 vcc, s9, v0
	v_cndmask_b32_e32 v6, 0, v6, vcc
	v_mov_b32_e32 v11, 0x7f800000
	v_cmp_nlt_f32_e32 vcc, s12, v0
	v_cndmask_b32_e32 v0, v11, v6, vcc
	v_ldexp_f32 v6, v12, v13
	v_cmp_ngt_f32_e32 vcc, s9, v1
	v_cndmask_b32_e32 v6, 0, v6, vcc
	v_cmp_nlt_f32_e32 vcc, s12, v1
	v_cndmask_b32_e64 v1, v2, v2, s[4:5]
	v_sub_f32_e32 v1, v1, v4
	v_mul_f32_e32 v2, 0x3fb8aa3b, v1
	v_fma_f32 v12, v1, s8, -v2
	v_rndne_f32_e32 v13, v2
	v_fmac_f32_e32 v12, 0x32a5705f, v1
	v_sub_f32_e32 v2, v2, v13
	v_add_f32_e32 v2, v2, v12
	v_exp_f32_e32 v2, v2
	v_cvt_i32_f32_e32 v12, v13
	v_sub_f32_e32 v3, v3, v4
	v_mul_f32_e32 v4, 0x3fb8aa3b, v3
	v_rndne_f32_e32 v14, v4
	v_ldexp_f32 v2, v2, v12
	v_fma_f32 v12, v3, s8, -v4
	v_fmac_f32_e32 v12, 0x32a5705f, v3
	v_sub_f32_e32 v4, v4, v14
	v_add_f32_e32 v4, v4, v12
	v_exp_f32_e32 v4, v4
	v_cvt_i32_f32_e32 v12, v14
	v_cndmask_b32_e64 v0, 0, v0, s[6:7]
	v_cndmask_b32_e32 v6, v11, v6, vcc
	v_cmp_ngt_f32_e32 vcc, s9, v1
	v_add_f32_e32 v13, v6, v0
	v_cndmask_b32_e32 v2, 0, v2, vcc
	v_cmp_nlt_f32_e32 vcc, s12, v1
	v_cndmask_b32_e64 v13, v0, v13, s[4:5]
	v_cndmask_b32_e32 v14, v11, v2, vcc
	v_ldexp_f32 v2, v4, v12
	v_cmp_ngt_f32_e32 vcc, s9, v3
	v_add_f32_e32 v1, v13, v14
	v_cndmask_b32_e32 v2, 0, v2, vcc
	v_cmp_nlt_f32_e32 vcc, s12, v3
	v_cndmask_b32_e64 v1, v13, v1, s[2:3]
	v_cndmask_b32_e32 v4, v11, v2, vcc
	v_add_f32_e32 v2, v1, v4
	v_cndmask_b32_e64 v1, v1, v2, s[0:1]
	ds_bpermute_b32 v2, v7, v1
	s_mov_b32 s12, 0
	v_cndmask_b32_e64 v7, 0, v14, s[2:3]
	s_waitcnt lgkmcnt(0)
	v_add_f32_e32 v1, v1, v2
	ds_bpermute_b32 v2, v8, v1
	s_waitcnt lgkmcnt(0)
	v_add_f32_e32 v1, v1, v2
	ds_bpermute_b32 v2, v9, v1
	;; [unrolled: 3-line block ×3, first 2 shown]
	v_mov_b32_e32 v1, s12
	v_cndmask_b32_e64 v1, v1, v6, s[4:5]
	v_cndmask_b32_e64 v6, 0, v6, s[4:5]
	s_waitcnt lgkmcnt(0)
	v_add_f32_e32 v3, v2, v3
	ds_bpermute_b32 v5, v5, v3
	v_mov_b32_e32 v2, s12
	v_cndmask_b32_e64 v2, v2, v14, s[2:3]
	s_waitcnt lgkmcnt(0)
	v_add_f32_e32 v5, v3, v5
	v_div_scale_f32 v8, s[8:9], v5, v5, 1.0
	v_rcp_f32_e32 v9, v8
	v_mov_b32_e32 v3, s12
	v_cndmask_b32_e64 v3, v3, v4, s[0:1]
	v_cndmask_b32_e64 v4, 0, v4, s[0:1]
	v_fma_f32 v10, -v8, v9, 1.0
	v_fmac_f32_e32 v9, v10, v9
	v_div_scale_f32 v10, vcc, 1.0, v5, 1.0
	v_mul_f32_e32 v11, v10, v9
	v_fma_f32 v12, -v8, v11, v10
	v_fmac_f32_e32 v11, v12, v9
	v_fma_f32 v8, -v8, v11, v10
	v_div_fmas_f32 v8, v8, v9, v11
	v_div_fixup_f32 v5, v8, v5, 1.0
	v_mul_f32_e32 v6, v6, v5
	v_mul_f32_e32 v8, v0, v5
	v_cndmask_b32_e64 v1, v1, v6, s[4:5]
	v_mul_f32_e32 v6, v7, v5
	v_mul_f32_e32 v4, v4, v5
	v_cndmask_b32_e64 v0, v0, v8, s[6:7]
	v_cndmask_b32_e64 v2, v2, v6, s[2:3]
	;; [unrolled: 1-line block ×3, first 2 shown]
.LBB7_33:
	v_mul_lo_u32 v4, v19, s17
	v_ashrrev_i32_e32 v5, 31, v4
	v_lshlrev_b64 v[4:5], 2, v[4:5]
	s_waitcnt vmcnt(1)
	v_mov_b32_e32 v6, s11
	v_add_co_u32_e32 v4, vcc, s10, v4
	v_addc_co_u32_e32 v5, vcc, v6, v5, vcc
	v_cmp_gt_i32_e32 vcc, s17, v20
	s_and_saveexec_b64 s[0:1], vcc
	s_cbranch_execnz .LBB7_39
; %bb.34:
	s_or_b64 exec, exec, s[0:1]
	v_cmp_gt_i32_e32 vcc, s17, v23
	s_and_saveexec_b64 s[0:1], vcc
	s_cbranch_execnz .LBB7_40
.LBB7_35:
	s_or_b64 exec, exec, s[0:1]
	v_cmp_gt_i32_e32 vcc, s17, v22
	s_and_saveexec_b64 s[0:1], vcc
	s_cbranch_execnz .LBB7_41
.LBB7_36:
	s_or_b64 exec, exec, s[0:1]
	v_cmp_gt_i32_e32 vcc, s17, v21
	s_and_b64 exec, exec, vcc
	s_cbranch_execz .LBB7_38
.LBB7_37:
	v_add_co_u32_e32 v0, vcc, v4, v17
	v_addc_co_u32_e32 v1, vcc, 0, v5, vcc
	v_mul_f32_e32 v2, s19, v3
	global_store_dword v[0:1], v2, off offset:384
.LBB7_38:
	s_endpgm
.LBB7_39:
	v_add_co_u32_e32 v6, vcc, v4, v17
	s_waitcnt vmcnt(0)
	v_addc_co_u32_e32 v7, vcc, 0, v5, vcc
	v_mul_f32_e32 v0, s19, v0
	global_store_dword v[6:7], v0, off
	s_or_b64 exec, exec, s[0:1]
	v_cmp_gt_i32_e32 vcc, s17, v23
	s_and_saveexec_b64 s[0:1], vcc
	s_cbranch_execz .LBB7_35
.LBB7_40:
	v_add_co_u32_e32 v6, vcc, v4, v17
	s_waitcnt vmcnt(0)
	v_addc_co_u32_e32 v7, vcc, 0, v5, vcc
	v_mul_f32_e32 v0, s19, v1
	global_store_dword v[6:7], v0, off offset:128
	s_or_b64 exec, exec, s[0:1]
	v_cmp_gt_i32_e32 vcc, s17, v22
	s_and_saveexec_b64 s[0:1], vcc
	s_cbranch_execz .LBB7_36
.LBB7_41:
	v_add_co_u32_e32 v0, vcc, v4, v17
	v_addc_co_u32_e32 v1, vcc, 0, v5, vcc
	v_mul_f32_e32 v2, s19, v2
	global_store_dword v[0:1], v2, off offset:256
	s_or_b64 exec, exec, s[0:1]
	v_cmp_gt_i32_e32 vcc, s17, v21
	s_and_b64 exec, exec, vcc
	s_cbranch_execnz .LBB7_37
	s_branch .LBB7_38
	.section	.rodata,"a",@progbits
	.p2align	6, 0x0
	.amdhsa_kernel _Z13topk_moe_cudaILi128ELb1EEvPKfPfPiS2_iiff15topk_moe_config
		.amdhsa_group_segment_fixed_size 0
		.amdhsa_private_segment_fixed_size 0
		.amdhsa_kernarg_size 312
		.amdhsa_user_sgpr_count 6
		.amdhsa_user_sgpr_private_segment_buffer 1
		.amdhsa_user_sgpr_dispatch_ptr 0
		.amdhsa_user_sgpr_queue_ptr 0
		.amdhsa_user_sgpr_kernarg_segment_ptr 1
		.amdhsa_user_sgpr_dispatch_id 0
		.amdhsa_user_sgpr_flat_scratch_init 0
		.amdhsa_user_sgpr_kernarg_preload_length 0
		.amdhsa_user_sgpr_kernarg_preload_offset 0
		.amdhsa_user_sgpr_private_segment_size 0
		.amdhsa_uses_dynamic_stack 0
		.amdhsa_system_sgpr_private_segment_wavefront_offset 0
		.amdhsa_system_sgpr_workgroup_id_x 1
		.amdhsa_system_sgpr_workgroup_id_y 0
		.amdhsa_system_sgpr_workgroup_id_z 0
		.amdhsa_system_sgpr_workgroup_info 0
		.amdhsa_system_vgpr_workitem_id 1
		.amdhsa_next_free_vgpr 36
		.amdhsa_next_free_sgpr 20
		.amdhsa_accum_offset 36
		.amdhsa_reserve_vcc 1
		.amdhsa_reserve_flat_scratch 0
		.amdhsa_float_round_mode_32 0
		.amdhsa_float_round_mode_16_64 0
		.amdhsa_float_denorm_mode_32 3
		.amdhsa_float_denorm_mode_16_64 3
		.amdhsa_dx10_clamp 1
		.amdhsa_ieee_mode 1
		.amdhsa_fp16_overflow 0
		.amdhsa_tg_split 0
		.amdhsa_exception_fp_ieee_invalid_op 0
		.amdhsa_exception_fp_denorm_src 0
		.amdhsa_exception_fp_ieee_div_zero 0
		.amdhsa_exception_fp_ieee_overflow 0
		.amdhsa_exception_fp_ieee_underflow 0
		.amdhsa_exception_fp_ieee_inexact 0
		.amdhsa_exception_int_div_zero 0
	.end_amdhsa_kernel
	.section	.text._Z13topk_moe_cudaILi128ELb1EEvPKfPfPiS2_iiff15topk_moe_config,"axG",@progbits,_Z13topk_moe_cudaILi128ELb1EEvPKfPfPiS2_iiff15topk_moe_config,comdat
.Lfunc_end7:
	.size	_Z13topk_moe_cudaILi128ELb1EEvPKfPfPiS2_iiff15topk_moe_config, .Lfunc_end7-_Z13topk_moe_cudaILi128ELb1EEvPKfPfPiS2_iiff15topk_moe_config
                                        ; -- End function
	.section	.AMDGPU.csdata,"",@progbits
; Kernel info:
; codeLenInByte = 4304
; NumSgprs: 24
; NumVgprs: 36
; NumAgprs: 0
; TotalNumVgprs: 36
; ScratchSize: 0
; MemoryBound: 0
; FloatMode: 240
; IeeeMode: 1
; LDSByteSize: 0 bytes/workgroup (compile time only)
; SGPRBlocks: 2
; VGPRBlocks: 4
; NumSGPRsForWavesPerEU: 24
; NumVGPRsForWavesPerEU: 36
; AccumOffset: 36
; Occupancy: 8
; WaveLimiterHint : 1
; COMPUTE_PGM_RSRC2:SCRATCH_EN: 0
; COMPUTE_PGM_RSRC2:USER_SGPR: 6
; COMPUTE_PGM_RSRC2:TRAP_HANDLER: 0
; COMPUTE_PGM_RSRC2:TGID_X_EN: 1
; COMPUTE_PGM_RSRC2:TGID_Y_EN: 0
; COMPUTE_PGM_RSRC2:TGID_Z_EN: 0
; COMPUTE_PGM_RSRC2:TIDIG_COMP_CNT: 1
; COMPUTE_PGM_RSRC3_GFX90A:ACCUM_OFFSET: 8
; COMPUTE_PGM_RSRC3_GFX90A:TG_SPLIT: 0
	.section	.text._Z13topk_moe_cudaILi256ELb1EEvPKfPfPiS2_iiff15topk_moe_config,"axG",@progbits,_Z13topk_moe_cudaILi256ELb1EEvPKfPfPiS2_iiff15topk_moe_config,comdat
	.protected	_Z13topk_moe_cudaILi256ELb1EEvPKfPfPiS2_iiff15topk_moe_config ; -- Begin function _Z13topk_moe_cudaILi256ELb1EEvPKfPfPiS2_iiff15topk_moe_config
	.globl	_Z13topk_moe_cudaILi256ELb1EEvPKfPfPiS2_iiff15topk_moe_config
	.p2align	8
	.type	_Z13topk_moe_cudaILi256ELb1EEvPKfPfPiS2_iiff15topk_moe_config,@function
_Z13topk_moe_cudaILi256ELb1EEvPKfPfPiS2_iiff15topk_moe_config: ; @_Z13topk_moe_cudaILi256ELb1EEvPKfPfPiS2_iiff15topk_moe_config
; %bb.0:
	s_load_dword s0, s[4:5], 0x44
	s_load_dwordx4 s[24:27], s[4:5], 0x20
	v_bfe_u32 v1, v0, 10, 10
	s_waitcnt lgkmcnt(0)
	s_lshr_b32 s0, s0, 16
	s_mul_i32 s6, s6, s0
	v_add_u32_e32 v31, s6, v1
	v_cmp_gt_i32_e32 vcc, s24, v31
	s_and_saveexec_b64 s[0:1], vcc
	s_cbranch_execz .LBB8_46
; %bb.1:
	s_load_dwordx8 s[16:23], s[4:5], 0x0
	v_lshlrev_b32_e32 v2, 8, v31
	v_ashrrev_i32_e32 v3, 31, v2
	v_mov_b32_e32 v1, 0
	v_lshlrev_b64 v[8:9], 2, v[2:3]
	global_load_ushort v18, v1, s[4:5] offset:48
	s_waitcnt lgkmcnt(0)
	v_mov_b32_e32 v1, s17
	v_add_co_u32_e32 v2, vcc, s16, v8
	v_and_b32_e32 v32, 0x3ff, v0
	v_addc_co_u32_e32 v1, vcc, v1, v9, vcc
	v_lshlrev_b32_e32 v29, 2, v32
	v_add_co_u32_e32 v0, vcc, v2, v29
	v_addc_co_u32_e32 v1, vcc, 0, v1, vcc
	global_load_dword v16, v[0:1], off
	global_load_dword v17, v[0:1], off offset:128
	global_load_dword v14, v[0:1], off offset:256
	;; [unrolled: 1-line block ×7, first 2 shown]
	s_load_dword s0, s[4:5], 0x30
	s_waitcnt lgkmcnt(0)
	s_bitcmp1_b32 s0, 16
	s_cselect_b64 s[8:9], -1, 0
	s_and_b64 vcc, exec, s[8:9]
	s_cbranch_vccnz .LBB8_7
; %bb.2:
	s_waitcnt vmcnt(8)
	v_and_b32_e32 v0, 1, v18
	v_cmp_eq_u32_e32 vcc, 0, v0
	s_cbranch_vccz .LBB8_4
; %bb.3:
	v_mbcnt_lo_u32_b32 v1, -1, 0
	v_mbcnt_hi_u32_b32 v1, -1, v1
	s_mov_b32 s0, 0xff800000
	v_and_b32_e32 v2, 0x60, v1
	s_waitcnt vmcnt(6)
	v_max3_f32 v0, v16, s0, v17
	v_add_u32_e32 v2, 32, v2
	v_xor_b32_e32 v3, 16, v1
	s_waitcnt vmcnt(4)
	v_max3_f32 v0, v0, v14, v15
	v_cmp_lt_i32_e32 vcc, v3, v2
	s_waitcnt vmcnt(2)
	v_max3_f32 v0, v0, v12, v13
	v_cndmask_b32_e32 v3, v1, v3, vcc
	s_waitcnt vmcnt(0)
	v_max3_f32 v0, v0, v10, v11
	v_lshlrev_b32_e32 v19, 2, v3
	ds_bpermute_b32 v3, v19, v0
	s_mov_b32 s0, 0x3fb8aa3b
	s_mov_b32 s1, 0xc2ce8ed0
	;; [unrolled: 1-line block ×3, first 2 shown]
	v_mov_b32_e32 v20, 0x7f800000
	s_waitcnt lgkmcnt(0)
	v_max_f32_e32 v3, v3, v3
	v_max_f32_e32 v0, v0, v3
	v_xor_b32_e32 v3, 8, v1
	v_cmp_lt_i32_e32 vcc, v3, v2
	v_cndmask_b32_e32 v3, v1, v3, vcc
	v_lshlrev_b32_e32 v22, 2, v3
	ds_bpermute_b32 v3, v22, v0
	s_waitcnt lgkmcnt(0)
	v_max_f32_e32 v3, v3, v3
	v_max_f32_e32 v0, v0, v3
	v_xor_b32_e32 v3, 4, v1
	v_cmp_lt_i32_e32 vcc, v3, v2
	v_cndmask_b32_e32 v3, v1, v3, vcc
	v_lshlrev_b32_e32 v23, 2, v3
	ds_bpermute_b32 v3, v23, v0
	;; [unrolled: 8-line block ×4, first 2 shown]
	s_waitcnt lgkmcnt(0)
	v_max_f32_e32 v1, v1, v1
	v_max_f32_e32 v0, v0, v1
	v_pk_add_f32 v[2:3], v[16:17], v[0:1] op_sel_hi:[1,0] neg_lo:[0,1] neg_hi:[0,1]
	v_mul_f32_e32 v1, 0x3fb8aa3b, v3
	v_fma_f32 v4, v3, s0, -v1
	v_rndne_f32_e32 v5, v1
	v_fmac_f32_e32 v4, 0x32a5705f, v3
	v_sub_f32_e32 v1, v1, v5
	v_add_f32_e32 v1, v1, v4
	v_exp_f32_e32 v1, v1
	v_cvt_i32_f32_e32 v4, v5
	v_cmp_ngt_f32_e32 vcc, s1, v3
	v_ldexp_f32 v1, v1, v4
	v_mul_f32_e32 v4, 0x3fb8aa3b, v2
	v_fma_f32 v5, v2, s0, -v4
	v_rndne_f32_e32 v6, v4
	v_fmac_f32_e32 v5, 0x32a5705f, v2
	v_sub_f32_e32 v4, v4, v6
	v_add_f32_e32 v4, v4, v5
	v_exp_f32_e32 v4, v4
	v_cvt_i32_f32_e32 v5, v6
	v_cndmask_b32_e32 v1, 0, v1, vcc
	v_cmp_nlt_f32_e32 vcc, s2, v3
	v_cndmask_b32_e32 v3, v20, v1, vcc
	v_ldexp_f32 v1, v4, v5
	v_pk_add_f32 v[4:5], v[14:15], v[0:1] op_sel_hi:[1,0] neg_lo:[0,1] neg_hi:[0,1]
	v_mul_f32_e32 v6, 0x3fb8aa3b, v5
	v_fma_f32 v7, v5, s0, -v6
	v_rndne_f32_e32 v21, v6
	v_fmac_f32_e32 v7, 0x32a5705f, v5
	v_sub_f32_e32 v6, v6, v21
	v_add_f32_e32 v6, v6, v7
	v_exp_f32_e32 v6, v6
	v_cvt_i32_f32_e32 v7, v21
	v_cmp_ngt_f32_e32 vcc, s1, v2
	v_cndmask_b32_e32 v1, 0, v1, vcc
	v_cmp_nlt_f32_e32 vcc, s2, v2
	v_cndmask_b32_e32 v2, v20, v1, vcc
	v_ldexp_f32 v1, v6, v7
	v_mul_f32_e32 v6, 0x3fb8aa3b, v4
	v_fma_f32 v7, v4, s0, -v6
	v_rndne_f32_e32 v21, v6
	v_fmac_f32_e32 v7, 0x32a5705f, v4
	v_sub_f32_e32 v6, v6, v21
	v_add_f32_e32 v6, v6, v7
	v_exp_f32_e32 v6, v6
	v_cvt_i32_f32_e32 v7, v21
	v_cmp_ngt_f32_e32 vcc, s1, v5
	v_cndmask_b32_e32 v1, 0, v1, vcc
	v_cmp_nlt_f32_e32 vcc, s2, v5
	v_cndmask_b32_e32 v5, v20, v1, vcc
	v_ldexp_f32 v1, v6, v7
	v_pk_add_f32 v[6:7], v[12:13], v[0:1] op_sel_hi:[1,0] neg_lo:[0,1] neg_hi:[0,1]
	v_mul_f32_e32 v21, 0x3fb8aa3b, v7
	v_fma_f32 v26, v7, s0, -v21
	v_rndne_f32_e32 v27, v21
	v_fmac_f32_e32 v26, 0x32a5705f, v7
	v_sub_f32_e32 v21, v21, v27
	v_add_f32_e32 v21, v21, v26
	v_exp_f32_e32 v21, v21
	v_cvt_i32_f32_e32 v26, v27
	v_cmp_ngt_f32_e32 vcc, s1, v4
	v_cndmask_b32_e32 v1, 0, v1, vcc
	v_cmp_nlt_f32_e32 vcc, s2, v4
	v_cndmask_b32_e32 v4, v20, v1, vcc
	v_ldexp_f32 v1, v21, v26
	v_mul_f32_e32 v21, 0x3fb8aa3b, v6
	v_fma_f32 v26, v6, s0, -v21
	v_rndne_f32_e32 v27, v21
	v_fmac_f32_e32 v26, 0x32a5705f, v6
	v_sub_f32_e32 v21, v21, v27
	v_add_f32_e32 v21, v21, v26
	v_exp_f32_e32 v21, v21
	v_cvt_i32_f32_e32 v26, v27
	v_cmp_ngt_f32_e32 vcc, s1, v7
	v_cndmask_b32_e32 v1, 0, v1, vcc
	v_cmp_nlt_f32_e32 vcc, s2, v7
	v_cndmask_b32_e32 v7, v20, v1, vcc
	v_pk_add_f32 v[0:1], v[10:11], v[0:1] op_sel_hi:[1,0] neg_lo:[0,1] neg_hi:[0,1]
	v_ldexp_f32 v21, v21, v26
	v_mul_f32_e32 v26, 0x3fb8aa3b, v1
	v_fma_f32 v27, v1, s0, -v26
	v_rndne_f32_e32 v28, v26
	v_fmac_f32_e32 v27, 0x32a5705f, v1
	v_sub_f32_e32 v26, v26, v28
	v_add_f32_e32 v26, v26, v27
	v_exp_f32_e32 v26, v26
	v_cvt_i32_f32_e32 v27, v28
	v_cmp_ngt_f32_e32 vcc, s1, v6
	v_cndmask_b32_e32 v21, 0, v21, vcc
	v_cmp_nlt_f32_e32 vcc, s2, v6
	v_cndmask_b32_e32 v6, v20, v21, vcc
	v_ldexp_f32 v21, v26, v27
	v_mul_f32_e32 v26, 0x3fb8aa3b, v0
	v_fma_f32 v27, v0, s0, -v26
	v_rndne_f32_e32 v28, v26
	v_fmac_f32_e32 v27, 0x32a5705f, v0
	v_sub_f32_e32 v26, v26, v28
	v_add_f32_e32 v26, v26, v27
	v_exp_f32_e32 v26, v26
	v_cvt_i32_f32_e32 v27, v28
	v_cmp_ngt_f32_e32 vcc, s1, v1
	v_cndmask_b32_e32 v21, 0, v21, vcc
	v_cmp_nlt_f32_e32 vcc, s2, v1
	v_cndmask_b32_e32 v21, v20, v21, vcc
	v_ldexp_f32 v1, v26, v27
	v_cmp_ngt_f32_e32 vcc, s1, v0
	v_cndmask_b32_e32 v1, 0, v1, vcc
	v_cmp_nlt_f32_e32 vcc, s2, v0
	v_add_f32_e32 v0, v2, v3
	v_add_f32_e32 v0, v4, v0
	;; [unrolled: 1-line block ×4, first 2 shown]
	v_cndmask_b32_e32 v20, v20, v1, vcc
	v_add_f32_e32 v0, v7, v0
	v_add_f32_e32 v0, v20, v0
	;; [unrolled: 1-line block ×3, first 2 shown]
	ds_bpermute_b32 v1, v19, v0
	s_waitcnt lgkmcnt(0)
	v_add_f32_e32 v0, v0, v1
	ds_bpermute_b32 v1, v22, v0
	s_waitcnt lgkmcnt(0)
	v_add_f32_e32 v0, v0, v1
	;; [unrolled: 3-line block ×5, first 2 shown]
	v_div_scale_f32 v1, s[0:1], v0, v0, 1.0
	v_rcp_f32_e32 v19, v1
	v_fma_f32 v22, -v1, v19, 1.0
	v_fmac_f32_e32 v19, v22, v19
	v_div_scale_f32 v22, vcc, 1.0, v0, 1.0
	v_mul_f32_e32 v23, v22, v19
	v_fma_f32 v24, -v1, v23, v22
	v_fmac_f32_e32 v23, v24, v19
	v_fma_f32 v1, -v1, v23, v22
	v_div_fmas_f32 v1, v1, v19, v23
	v_div_fixup_f32 v22, v1, v0, 1.0
	v_pk_mul_f32 v[0:1], v[2:3], v[22:23] op_sel_hi:[1,0]
	v_pk_mul_f32 v[2:3], v[4:5], v[22:23] op_sel_hi:[1,0]
	;; [unrolled: 1-line block ×4, first 2 shown]
	s_cbranch_execz .LBB8_5
	s_branch .LBB8_6
.LBB8_4:
                                        ; implicit-def: $vgpr7
                                        ; implicit-def: $vgpr5
                                        ; implicit-def: $vgpr3
                                        ; implicit-def: $vgpr1
.LBB8_5:
	s_waitcnt vmcnt(6)
	v_mul_f32_e32 v0, 0xbfb8aa3b, v17
	s_mov_b32 s2, 0xbfb8aa3b
	v_rndne_f32_e32 v1, v0
	v_sub_f32_e32 v2, v0, v1
	v_fma_f32 v0, v17, s2, -v0
	v_fmac_f32_e32 v0, 0xb2a5705f, v17
	v_add_f32_e32 v0, v2, v0
	v_exp_f32_e32 v0, v0
	v_cvt_i32_f32_e32 v1, v1
	s_mov_b32 s3, 0x42ce8ed0
	v_cmp_nlt_f32_e32 vcc, s3, v17
	s_mov_b32 s4, 0xc2b17218
	v_ldexp_f32 v0, v0, v1
	v_mul_f32_e32 v1, 0xbfb8aa3b, v16
	v_rndne_f32_e32 v2, v1
	v_sub_f32_e32 v3, v1, v2
	v_fma_f32 v1, v16, s2, -v1
	v_fmac_f32_e32 v1, 0xb2a5705f, v16
	v_add_f32_e32 v1, v3, v1
	v_exp_f32_e32 v3, v1
	v_cvt_i32_f32_e32 v2, v2
	v_cndmask_b32_e32 v0, 0, v0, vcc
	v_mov_b32_e32 v6, 0x7f800000
	v_cmp_ngt_f32_e32 vcc, s4, v17
	v_cndmask_b32_e32 v1, v6, v0, vcc
	v_ldexp_f32 v0, v3, v2
	v_cmp_nlt_f32_e32 vcc, s3, v16
	v_cndmask_b32_e32 v0, 0, v0, vcc
	v_cmp_ngt_f32_e32 vcc, s4, v16
	v_cndmask_b32_e32 v0, v6, v0, vcc
	v_pk_add_f32 v[0:1], v[0:1], 1.0 op_sel_hi:[1,0]
	v_div_scale_f32 v2, s[0:1], v0, v0, 1.0
	v_rcp_f32_e32 v3, v2
	v_fma_f32 v4, -v2, v3, 1.0
	v_fmac_f32_e32 v3, v4, v3
	v_div_scale_f32 v4, vcc, 1.0, v0, 1.0
	v_mul_f32_e32 v5, v4, v3
	v_fma_f32 v7, -v2, v5, v4
	v_fmac_f32_e32 v5, v7, v3
	v_fma_f32 v2, -v2, v5, v4
	v_div_scale_f32 v4, s[0:1], v1, v1, 1.0
	v_rcp_f32_e32 v7, v4
	v_div_fmas_f32 v2, v2, v3, v5
	s_waitcnt vmcnt(4)
	v_mul_f32_e32 v3, 0xbfb8aa3b, v15
	v_rndne_f32_e32 v16, v3
	v_sub_f32_e32 v17, v3, v16
	v_fma_f32 v3, v15, s2, -v3
	v_fmac_f32_e32 v3, 0xb2a5705f, v15
	v_div_fixup_f32 v0, v2, v0, 1.0
	v_fma_f32 v2, -v4, v7, 1.0
	v_add_f32_e32 v3, v17, v3
	v_fmac_f32_e32 v7, v2, v7
	v_div_scale_f32 v2, vcc, 1.0, v1, 1.0
	v_exp_f32_e32 v3, v3
	v_cvt_i32_f32_e32 v16, v16
	v_mul_f32_e32 v5, v2, v7
	v_fma_f32 v17, -v4, v5, v2
	v_fmac_f32_e32 v5, v17, v7
	v_fma_f32 v4, -v4, v5, v2
	v_ldexp_f32 v2, v3, v16
	v_mul_f32_e32 v3, 0xbfb8aa3b, v14
	v_rndne_f32_e32 v16, v3
	v_sub_f32_e32 v17, v3, v16
	v_fma_f32 v3, v14, s2, -v3
	v_fmac_f32_e32 v3, 0xb2a5705f, v14
	v_add_f32_e32 v3, v17, v3
	v_exp_f32_e32 v17, v3
	v_cvt_i32_f32_e32 v16, v16
	v_cmp_nlt_f32_e64 s[0:1], s3, v15
	v_cndmask_b32_e64 v2, 0, v2, s[0:1]
	v_cmp_ngt_f32_e64 s[0:1], s4, v15
	v_cndmask_b32_e64 v3, v6, v2, s[0:1]
	v_ldexp_f32 v2, v17, v16
	v_cmp_nlt_f32_e64 s[0:1], s3, v14
	v_cndmask_b32_e64 v2, 0, v2, s[0:1]
	v_cmp_ngt_f32_e64 s[0:1], s4, v14
	v_cndmask_b32_e64 v2, v6, v2, s[0:1]
	v_pk_add_f32 v[2:3], v[2:3], 1.0 op_sel_hi:[1,0]
	v_div_scale_f32 v14, s[0:1], v2, v2, 1.0
	v_rcp_f32_e32 v15, v14
	v_div_fmas_f32 v4, v4, v7, v5
	v_div_fixup_f32 v1, v4, v1, 1.0
	v_fma_f32 v4, -v14, v15, 1.0
	v_fmac_f32_e32 v15, v4, v15
	v_div_scale_f32 v4, vcc, 1.0, v2, 1.0
	v_mul_f32_e32 v5, v4, v15
	v_fma_f32 v7, -v14, v5, v4
	v_fmac_f32_e32 v5, v7, v15
	v_fma_f32 v4, -v14, v5, v4
	v_div_scale_f32 v7, s[0:1], v3, v3, 1.0
	v_rcp_f32_e32 v14, v7
	v_div_fmas_f32 v4, v4, v15, v5
	s_waitcnt vmcnt(2)
	v_mul_f32_e32 v5, 0xbfb8aa3b, v13
	v_rndne_f32_e32 v16, v5
	v_sub_f32_e32 v17, v5, v16
	v_fma_f32 v5, v13, s2, -v5
	v_fmac_f32_e32 v5, 0xb2a5705f, v13
	v_div_fixup_f32 v2, v4, v2, 1.0
	v_fma_f32 v4, -v7, v14, 1.0
	v_add_f32_e32 v5, v17, v5
	v_fmac_f32_e32 v14, v4, v14
	v_div_scale_f32 v4, vcc, 1.0, v3, 1.0
	v_exp_f32_e32 v5, v5
	v_cvt_i32_f32_e32 v16, v16
	v_mul_f32_e32 v15, v4, v14
	v_fma_f32 v17, -v7, v15, v4
	v_fmac_f32_e32 v15, v17, v14
	v_fma_f32 v7, -v7, v15, v4
	v_ldexp_f32 v4, v5, v16
	v_mul_f32_e32 v5, 0xbfb8aa3b, v12
	v_rndne_f32_e32 v16, v5
	v_sub_f32_e32 v17, v5, v16
	v_fma_f32 v5, v12, s2, -v5
	v_fmac_f32_e32 v5, 0xb2a5705f, v12
	v_add_f32_e32 v5, v17, v5
	v_exp_f32_e32 v17, v5
	v_cvt_i32_f32_e32 v16, v16
	v_cmp_nlt_f32_e64 s[0:1], s3, v13
	v_cndmask_b32_e64 v4, 0, v4, s[0:1]
	v_cmp_ngt_f32_e64 s[0:1], s4, v13
	v_cndmask_b32_e64 v5, v6, v4, s[0:1]
	v_ldexp_f32 v4, v17, v16
	v_cmp_nlt_f32_e64 s[0:1], s3, v12
	v_cndmask_b32_e64 v4, 0, v4, s[0:1]
	v_cmp_ngt_f32_e64 s[0:1], s4, v12
	v_cndmask_b32_e64 v4, v6, v4, s[0:1]
	v_pk_add_f32 v[4:5], v[4:5], 1.0 op_sel_hi:[1,0]
	v_div_scale_f32 v12, s[0:1], v4, v4, 1.0
	v_rcp_f32_e32 v13, v12
	v_div_fmas_f32 v7, v7, v14, v15
	v_div_fixup_f32 v3, v7, v3, 1.0
	;; [unrolled: 50-line block ×3, first 2 shown]
	v_fma_f32 v12, -v10, v11, 1.0
	v_fmac_f32_e32 v11, v12, v11
	v_div_scale_f32 v12, vcc, 1.0, v6, 1.0
	v_mul_f32_e32 v13, v12, v11
	v_fma_f32 v14, -v10, v13, v12
	v_fmac_f32_e32 v13, v14, v11
	v_fma_f32 v10, -v10, v13, v12
	v_div_scale_f32 v12, s[0:1], v7, v7, 1.0
	v_rcp_f32_e32 v14, v12
	v_div_fmas_f32 v10, v10, v11, v13
	v_div_fixup_f32 v6, v10, v6, 1.0
	v_fma_f32 v10, -v12, v14, 1.0
	v_fmac_f32_e32 v14, v10, v14
	v_div_scale_f32 v10, vcc, 1.0, v7, 1.0
	v_mul_f32_e32 v11, v10, v14
	v_fma_f32 v13, -v12, v11, v10
	v_fmac_f32_e32 v11, v13, v14
	v_fma_f32 v10, -v12, v11, v10
	v_div_fmas_f32 v10, v10, v14, v11
	v_div_fixup_f32 v7, v10, v7, 1.0
.LBB8_6:
	s_waitcnt vmcnt(7)
	v_mov_b32_e32 v16, v0
	s_waitcnt vmcnt(6)
	v_mov_b32_e32 v17, v1
	;; [unrolled: 2-line block ×8, first 2 shown]
.LBB8_7:
	s_waitcnt vmcnt(8)
	v_lshrrev_b16_e32 v0, 8, v18
	s_cmp_gt_i32 s25, 0
	v_readfirstlane_b32 s14, v0
	s_cbranch_scc1 .LBB8_9
; %bb.8:
	s_mov_b32 s0, 0
	s_bitcmp1_b32 s14, 0
	s_mov_b32 s1, s0
	s_mov_b32 s2, s0
	;; [unrolled: 1-line block ×7, first 2 shown]
	s_mov_b64 s[12:13], 0
	s_cselect_b64 s[10:11], -1, 0
	s_branch .LBB8_10
.LBB8_9:
	s_mov_b64 s[12:13], -1
                                        ; implicit-def: $sgpr0
                                        ; implicit-def: $sgpr10_sgpr11
.LBB8_10:
	v_pk_mov_b32 v[0:1], s[0:1], s[0:1] op_sel:[0,1]
	v_add_u32_e32 v39, 32, v32
	v_add_u32_e32 v38, 64, v32
	v_add_u32_e32 v37, 0x60, v32
	v_add_u32_e32 v36, 0x80, v32
	v_add_u32_e32 v35, 0xa0, v32
	v_add_u32_e32 v34, 0xc0, v32
	v_add_u32_e32 v33, 0xe0, v32
	s_andn2_b64 vcc, exec, s[12:13]
	v_mov_b32_e32 v41, s0
	v_pk_mov_b32 v[2:3], s[2:3], s[2:3] op_sel:[0,1]
	v_pk_mov_b32 v[4:5], s[4:5], s[4:5] op_sel:[0,1]
	;; [unrolled: 1-line block ×3, first 2 shown]
	v_mbcnt_lo_u32_b32 v40, -1, 0
	s_cbranch_vccnz .LBB8_33
; %bb.11:
	global_load_dword v18, v29, s[22:23]
	global_load_dword v19, v29, s[22:23] offset:128
	global_load_dword v20, v29, s[22:23] offset:256
	;; [unrolled: 1-line block ×7, first 2 shown]
	v_mov_b32_e32 v7, 0xff7fffff
	s_waitcnt vmcnt(15)
	v_cmp_o_f32_e32 vcc, v16, v16
	v_cndmask_b32_e32 v16, v7, v16, vcc
	s_waitcnt vmcnt(14)
	v_cmp_o_f32_e32 vcc, v17, v17
	v_cndmask_b32_e32 v17, v7, v17, vcc
	;; [unrolled: 3-line block ×6, first 2 shown]
	s_waitcnt vmcnt(9)
	v_cmp_o_f32_e32 vcc, v10, v10
	v_mbcnt_hi_u32_b32 v27, -1, v40
	v_cndmask_b32_e32 v10, v7, v10, vcc
	s_waitcnt vmcnt(8)
	v_cmp_o_f32_e32 vcc, v11, v11
	v_mov_b32_e32 v26, s21
	v_cndmask_b32_e32 v11, v7, v11, vcc
	v_add_co_u32_e32 v8, vcc, s20, v8
	v_and_b32_e32 v7, 0x60, v27
	v_addc_co_u32_e32 v9, vcc, v26, v9, vcc
	v_xor_b32_e32 v26, 16, v27
	v_add_u32_e32 v7, 32, v7
	v_xor_b32_e32 v28, 8, v27
	v_cmp_lt_i32_e32 vcc, v26, v7
	v_xor_b32_e32 v30, 4, v27
	v_cndmask_b32_e32 v26, v27, v26, vcc
	v_cmp_lt_i32_e32 vcc, v28, v7
	v_xor_b32_e32 v43, 2, v27
	v_cndmask_b32_e32 v28, v27, v28, vcc
	;; [unrolled: 3-line block ×3, first 2 shown]
	v_cmp_lt_i32_e32 vcc, v43, v7
	v_cndmask_b32_e32 v46, v27, v43, vcc
	v_cmp_lt_i32_e32 vcc, v44, v7
	s_bitcmp1_b32 s14, 0
	v_cndmask_b32_e32 v7, v27, v44, vcc
	s_mov_b32 s6, 0
	v_mov_b32_e32 v41, 0
	v_mov_b32_e32 v42, 0xff800000
	;; [unrolled: 1-line block ×9, first 2 shown]
	s_cselect_b64 s[10:11], -1, 0
	v_lshlrev_b32_e32 v43, 2, v26
	v_lshlrev_b32_e32 v44, 2, v28
	v_lshlrev_b32_e32 v45, 2, v30
	v_lshlrev_b32_e32 v46, 2, v46
	v_lshlrev_b32_e32 v47, 2, v7
	v_mov_b32_e32 v7, 0
	s_waitcnt vmcnt(6)
	v_pk_add_f32 v[18:19], v[16:17], v[18:19]
	s_waitcnt vmcnt(4)
	v_pk_add_f32 v[20:21], v[14:15], v[20:21]
	;; [unrolled: 2-line block ×4, first 2 shown]
	s_branch .LBB8_13
.LBB8_12:                               ;   in Loop: Header=BB8_13 Depth=1
	s_or_b64 exec, exec, s[2:3]
	s_and_b32 s0, s6, 31
	v_cmp_eq_u32_e32 vcc, s0, v32
	s_lshr_b32 s0, s6, 5
	s_cmp_eq_u32 s0, 0
	s_cselect_b64 s[2:3], -1, 0
	s_cmp_eq_u32 s0, 1
	s_cselect_b64 s[4:5], -1, 0
	;; [unrolled: 2-line block ×8, first 2 shown]
	s_and_b64 s[0:1], vcc, s[0:1]
	v_cndmask_b32_e64 v7, v7, v26, s[0:1]
	s_and_b64 s[0:1], vcc, s[22:23]
	v_cndmask_b32_e64 v6, v6, v26, s[0:1]
	;; [unrolled: 2-line block ×6, first 2 shown]
	s_and_b64 s[0:1], vcc, s[4:5]
	s_and_b64 vcc, vcc, s[2:3]
	v_cndmask_b32_e32 v0, v0, v26, vcc
	s_add_i32 s6, s6, 1
	v_add_co_u32_e32 v8, vcc, 4, v8
	v_cndmask_b32_e64 v1, v1, v26, s[0:1]
	s_cmp_eq_u32 s25, s6
	v_addc_co_u32_e32 v9, vcc, 0, v9, vcc
	s_cbranch_scc1 .LBB8_33
.LBB8_13:                               ; =>This Inner Loop Header: Depth=1
	v_cmp_gt_f32_e32 vcc, v19, v18
	v_cndmask_b32_e32 v28, v18, v19, vcc
	v_cndmask_b32_e32 v26, v16, v17, vcc
	v_cndmask_b32_e32 v27, v32, v39, vcc
	v_cmp_gt_f32_e32 vcc, v20, v28
	v_cndmask_b32_e32 v28, v28, v20, vcc
	v_cndmask_b32_e32 v26, v26, v14, vcc
	v_cndmask_b32_e32 v27, v27, v38, vcc
	;; [unrolled: 4-line block ×7, first 2 shown]
	ds_bpermute_b32 v51, v43, v48
	ds_bpermute_b32 v30, v43, v28
	;; [unrolled: 1-line block ×3, first 2 shown]
                                        ; implicit-def: $vgpr26_vgpr27
	s_waitcnt lgkmcnt(2)
	v_cmp_lt_f32_e64 s[2:3], v48, v51
	v_cmp_nlt_f32_e32 vcc, v48, v51
	s_and_saveexec_b64 s[4:5], vcc
	s_cbranch_execz .LBB8_15
; %bb.14:                               ;   in Loop: Header=BB8_13 Depth=1
	v_cmp_eq_f32_e32 vcc, v48, v51
	s_waitcnt lgkmcnt(0)
	v_cmp_lt_i32_e64 s[0:1], v50, v49
	s_and_b64 s[0:1], vcc, s[0:1]
	s_andn2_b64 s[2:3], s[2:3], exec
	s_and_b64 s[0:1], s[0:1], exec
	s_or_b64 s[2:3], s[2:3], s[0:1]
	v_pk_mov_b32 v[26:27], v[28:29], v[28:29] op_sel:[0,1]
.LBB8_15:                               ;   in Loop: Header=BB8_13 Depth=1
	s_or_b64 exec, exec, s[4:5]
	s_and_saveexec_b64 s[0:1], s[2:3]
	s_cbranch_execz .LBB8_17
; %bb.16:                               ;   in Loop: Header=BB8_13 Depth=1
	v_mov_b32_e32 v48, v51
	s_waitcnt lgkmcnt(1)
	v_mov_b32_e32 v28, v30
	s_waitcnt lgkmcnt(0)
	v_mov_b32_e32 v49, v50
	v_pk_mov_b32 v[26:27], v[30:31], v[30:31] op_sel:[0,1]
.LBB8_17:                               ;   in Loop: Header=BB8_13 Depth=1
	s_or_b64 exec, exec, s[0:1]
	s_waitcnt lgkmcnt(0)
	ds_bpermute_b32 v50, v44, v48
	ds_bpermute_b32 v30, v44, v28
	;; [unrolled: 1-line block ×3, first 2 shown]
	s_waitcnt lgkmcnt(2)
	v_cmp_lt_f32_e64 s[2:3], v48, v50
	v_cmp_nlt_f32_e32 vcc, v48, v50
	s_and_saveexec_b64 s[4:5], vcc
	s_cbranch_execz .LBB8_19
; %bb.18:                               ;   in Loop: Header=BB8_13 Depth=1
	v_cmp_eq_f32_e32 vcc, v48, v50
	s_waitcnt lgkmcnt(0)
	v_cmp_lt_i32_e64 s[0:1], v27, v49
	s_and_b64 s[0:1], vcc, s[0:1]
	s_andn2_b64 s[2:3], s[2:3], exec
	s_and_b64 s[0:1], s[0:1], exec
	s_or_b64 s[2:3], s[2:3], s[0:1]
.LBB8_19:                               ;   in Loop: Header=BB8_13 Depth=1
	s_or_b64 exec, exec, s[4:5]
	s_and_saveexec_b64 s[0:1], s[2:3]
	s_cbranch_execz .LBB8_21
; %bb.20:                               ;   in Loop: Header=BB8_13 Depth=1
	v_mov_b32_e32 v48, v50
	s_waitcnt lgkmcnt(1)
	v_mov_b32_e32 v28, v30
	s_waitcnt lgkmcnt(0)
	v_mov_b32_e32 v49, v27
	v_pk_mov_b32 v[26:27], v[30:31], v[30:31] op_sel:[0,1]
.LBB8_21:                               ;   in Loop: Header=BB8_13 Depth=1
	s_or_b64 exec, exec, s[0:1]
	ds_bpermute_b32 v50, v45, v48
	s_waitcnt lgkmcnt(2)
	ds_bpermute_b32 v30, v45, v28
	s_waitcnt lgkmcnt(2)
	;; [unrolled: 2-line block ×3, first 2 shown]
	v_cmp_lt_f32_e64 s[2:3], v48, v50
	v_cmp_nlt_f32_e32 vcc, v48, v50
	s_and_saveexec_b64 s[4:5], vcc
	s_cbranch_execz .LBB8_23
; %bb.22:                               ;   in Loop: Header=BB8_13 Depth=1
	v_cmp_eq_f32_e32 vcc, v48, v50
	s_waitcnt lgkmcnt(0)
	v_cmp_lt_i32_e64 s[0:1], v27, v49
	s_and_b64 s[0:1], vcc, s[0:1]
	s_andn2_b64 s[2:3], s[2:3], exec
	s_and_b64 s[0:1], s[0:1], exec
	s_or_b64 s[2:3], s[2:3], s[0:1]
.LBB8_23:                               ;   in Loop: Header=BB8_13 Depth=1
	s_or_b64 exec, exec, s[4:5]
	s_and_saveexec_b64 s[0:1], s[2:3]
	s_cbranch_execz .LBB8_25
; %bb.24:                               ;   in Loop: Header=BB8_13 Depth=1
	v_mov_b32_e32 v48, v50
	s_waitcnt lgkmcnt(1)
	v_mov_b32_e32 v28, v30
	s_waitcnt lgkmcnt(0)
	v_mov_b32_e32 v49, v27
	v_pk_mov_b32 v[26:27], v[30:31], v[30:31] op_sel:[0,1]
.LBB8_25:                               ;   in Loop: Header=BB8_13 Depth=1
	s_or_b64 exec, exec, s[0:1]
	ds_bpermute_b32 v50, v46, v48
	s_waitcnt lgkmcnt(2)
	ds_bpermute_b32 v30, v46, v28
	s_waitcnt lgkmcnt(2)
	;; [unrolled: 2-line block ×3, first 2 shown]
	v_cmp_lt_f32_e64 s[2:3], v48, v50
	v_cmp_nlt_f32_e32 vcc, v48, v50
	s_and_saveexec_b64 s[4:5], vcc
	s_cbranch_execz .LBB8_27
; %bb.26:                               ;   in Loop: Header=BB8_13 Depth=1
	v_cmp_eq_f32_e32 vcc, v48, v50
	s_waitcnt lgkmcnt(0)
	v_cmp_lt_i32_e64 s[0:1], v27, v49
	s_and_b64 s[0:1], vcc, s[0:1]
	s_andn2_b64 s[2:3], s[2:3], exec
	s_and_b64 s[0:1], s[0:1], exec
	s_or_b64 s[2:3], s[2:3], s[0:1]
.LBB8_27:                               ;   in Loop: Header=BB8_13 Depth=1
	s_or_b64 exec, exec, s[4:5]
	s_and_saveexec_b64 s[0:1], s[2:3]
	s_cbranch_execz .LBB8_29
; %bb.28:                               ;   in Loop: Header=BB8_13 Depth=1
	v_mov_b32_e32 v48, v50
	s_waitcnt lgkmcnt(1)
	v_mov_b32_e32 v28, v30
	s_waitcnt lgkmcnt(0)
	v_mov_b32_e32 v49, v27
	v_pk_mov_b32 v[26:27], v[30:31], v[30:31] op_sel:[0,1]
.LBB8_29:                               ;   in Loop: Header=BB8_13 Depth=1
	s_or_b64 exec, exec, s[0:1]
	s_waitcnt lgkmcnt(0)
	ds_bpermute_b32 v27, v47, v48
	ds_bpermute_b32 v30, v47, v49
	;; [unrolled: 1-line block ×3, first 2 shown]
	s_waitcnt lgkmcnt(2)
	v_cmp_eq_f32_e64 s[0:1], v48, v27
	s_waitcnt lgkmcnt(1)
	v_cmp_lt_i32_e64 s[2:3], v30, v49
	v_cmp_lt_f32_e32 vcc, v48, v27
	s_and_b64 s[0:1], s[0:1], s[2:3]
	s_or_b64 vcc, vcc, s[0:1]
	v_cndmask_b32_e32 v27, v49, v30, vcc
	v_and_b32_e32 v30, 31, v27
	v_cmp_eq_u32_e64 s[0:1], v30, v32
	s_and_saveexec_b64 s[4:5], s[0:1]
	s_cbranch_execz .LBB8_31
; %bb.30:                               ;   in Loop: Header=BB8_13 Depth=1
	v_ashrrev_i32_e32 v30, 31, v27
	v_lshrrev_b32_e32 v30, 27, v30
	v_add_u32_e32 v30, v27, v30
	v_ashrrev_i32_e32 v30, 5, v30
	v_cmp_ne_u32_e64 s[2:3], 7, v30
	v_cndmask_b32_e64 v25, v42, v25, s[2:3]
	v_cmp_ne_u32_e64 s[2:3], 6, v30
	v_cndmask_b32_e64 v24, v42, v24, s[2:3]
	;; [unrolled: 2-line block ×8, first 2 shown]
.LBB8_31:                               ;   in Loop: Header=BB8_13 Depth=1
	s_or_b64 exec, exec, s[4:5]
	s_waitcnt lgkmcnt(0)
	v_cndmask_b32_e32 v26, v26, v28, vcc
	s_and_saveexec_b64 s[2:3], s[0:1]
	s_cbranch_execz .LBB8_12
; %bb.32:                               ;   in Loop: Header=BB8_13 Depth=1
	v_add_f32_e32 v28, v41, v26
	v_cndmask_b32_e64 v41, v41, v28, s[10:11]
	global_store_dword v[8:9], v27, off
	s_branch .LBB8_12
.LBB8_33:
	s_and_b64 vcc, exec, s[10:11]
	s_cbranch_vccz .LBB8_35
; %bb.34:
	v_mbcnt_hi_u32_b32 v8, -1, v40
	v_and_b32_e32 v9, 0x60, v8
	v_add_u32_e32 v9, 32, v9
	s_waitcnt vmcnt(1)
	v_xor_b32_e32 v10, 16, v8
	v_cmp_lt_i32_e32 vcc, v10, v9
	v_cndmask_b32_e32 v10, v8, v10, vcc
	v_lshlrev_b32_e32 v10, 2, v10
	ds_bpermute_b32 v10, v10, v41
	s_waitcnt vmcnt(0)
	v_xor_b32_e32 v11, 8, v8
	v_cmp_lt_i32_e32 vcc, v11, v9
	v_cndmask_b32_e32 v11, v8, v11, vcc
	v_lshlrev_b32_e32 v11, 2, v11
	s_waitcnt lgkmcnt(0)
	v_add_f32_e32 v10, v41, v10
	ds_bpermute_b32 v11, v11, v10
	v_xor_b32_e32 v12, 4, v8
	v_cmp_lt_i32_e32 vcc, v12, v9
	s_waitcnt lgkmcnt(0)
	v_add_f32_e32 v10, v10, v11
	v_cndmask_b32_e32 v11, v8, v12, vcc
	v_lshlrev_b32_e32 v11, 2, v11
	ds_bpermute_b32 v11, v11, v10
	v_xor_b32_e32 v12, 2, v8
	v_cmp_lt_i32_e32 vcc, v12, v9
	s_waitcnt lgkmcnt(0)
	v_add_f32_e32 v10, v10, v11
	v_cndmask_b32_e32 v11, v8, v12, vcc
	v_lshlrev_b32_e32 v11, 2, v11
	ds_bpermute_b32 v11, v11, v10
	v_xor_b32_e32 v12, 1, v8
	v_cmp_lt_i32_e32 vcc, v12, v9
	v_cndmask_b32_e32 v8, v8, v12, vcc
	v_lshlrev_b32_e32 v8, 2, v8
	s_waitcnt lgkmcnt(0)
	v_add_f32_e32 v10, v10, v11
	ds_bpermute_b32 v8, v8, v10
	v_max_f32_e64 v9, s26, s26
	s_waitcnt lgkmcnt(0)
	v_add_f32_e32 v8, v10, v8
	v_max_f32_e32 v8, v8, v9
	v_div_scale_f32 v9, s[0:1], v8, v8, 1.0
	v_rcp_f32_e32 v10, v9
	v_div_scale_f32 v11, vcc, 1.0, v8, 1.0
	v_fma_f32 v12, -v9, v10, 1.0
	v_fmac_f32_e32 v10, v12, v10
	v_mul_f32_e32 v12, v11, v10
	v_fma_f32 v13, -v9, v12, v11
	v_fmac_f32_e32 v12, v13, v10
	v_fma_f32 v9, -v9, v12, v11
	v_div_fmas_f32 v9, v9, v10, v12
	v_div_fixup_f32 v8, v9, v8, 1.0
	v_pk_mul_f32 v[6:7], v[8:9], v[6:7] op_sel_hi:[0,1]
	v_pk_mul_f32 v[4:5], v[8:9], v[4:5] op_sel_hi:[0,1]
	;; [unrolled: 1-line block ×4, first 2 shown]
.LBB8_35:
	s_andn2_b64 vcc, exec, s[8:9]
	v_cmp_gt_i32_e64 s[12:13], s25, v39
	v_cmp_gt_i32_e64 s[10:11], s25, v38
	;; [unrolled: 1-line block ×8, first 2 shown]
	s_cbranch_vccnz .LBB8_37
; %bb.36:
	v_max_f32_e32 v8, v0, v0
	v_max_f32_e32 v8, 0xff800000, v8
	v_mov_b32_e32 v9, 0xff800000
	v_cndmask_b32_e64 v8, v9, v8, s[14:15]
	v_max_f32_e32 v9, v1, v1
	v_max_f32_e32 v9, v8, v9
	v_cndmask_b32_e64 v8, v8, v9, s[12:13]
	v_max_f32_e32 v9, v2, v2
	v_max_f32_e32 v9, v8, v9
	;; [unrolled: 3-line block ×4, first 2 shown]
	v_cndmask_b32_e64 v8, v8, v9, s[6:7]
	v_max_f32_e32 v9, v8, v8
	s_waitcnt vmcnt(1)
	v_max_f32_e32 v10, v5, v5
	v_max_f32_e32 v9, v9, v10
	v_cndmask_b32_e64 v8, v8, v9, s[4:5]
	v_max_f32_e32 v9, v8, v8
	v_max_f32_e32 v10, v6, v6
	;; [unrolled: 1-line block ×3, first 2 shown]
	v_cndmask_b32_e64 v8, v8, v9, s[2:3]
	v_max_f32_e32 v9, v8, v8
	v_max_f32_e32 v10, v7, v7
	;; [unrolled: 1-line block ×3, first 2 shown]
	v_cndmask_b32_e64 v8, v8, v9, s[0:1]
	v_mbcnt_hi_u32_b32 v9, -1, v40
	v_and_b32_e32 v10, 0x60, v9
	v_add_u32_e32 v10, 32, v10
	s_waitcnt vmcnt(0)
	v_xor_b32_e32 v11, 16, v9
	v_cmp_lt_i32_e32 vcc, v11, v10
	v_cndmask_b32_e32 v11, v9, v11, vcc
	v_lshlrev_b32_e32 v11, 2, v11
	ds_bpermute_b32 v12, v11, v8
	v_max_f32_e32 v8, v8, v8
	s_mov_b32 s16, 0x3fb8aa3b
	s_mov_b32 s17, 0xc2ce8ed0
	;; [unrolled: 1-line block ×3, first 2 shown]
	s_waitcnt lgkmcnt(0)
	v_max_f32_e32 v12, v12, v12
	v_max_f32_e32 v8, v8, v12
	v_xor_b32_e32 v12, 8, v9
	v_cmp_lt_i32_e32 vcc, v12, v10
	v_cndmask_b32_e32 v12, v9, v12, vcc
	v_lshlrev_b32_e32 v12, 2, v12
	ds_bpermute_b32 v13, v12, v8
	s_waitcnt lgkmcnt(0)
	v_max_f32_e32 v13, v13, v13
	v_max_f32_e32 v8, v8, v13
	v_xor_b32_e32 v13, 4, v9
	v_cmp_lt_i32_e32 vcc, v13, v10
	v_cndmask_b32_e32 v13, v9, v13, vcc
	v_lshlrev_b32_e32 v13, 2, v13
	ds_bpermute_b32 v14, v13, v8
	;; [unrolled: 8-line block ×4, first 2 shown]
	s_waitcnt lgkmcnt(0)
	v_max_f32_e32 v10, v10, v10
	v_max_f32_e32 v8, v8, v10
	v_sub_f32_e32 v0, v0, v8
	v_mul_f32_e32 v10, 0x3fb8aa3b, v0
	v_fma_f32 v15, v0, s16, -v10
	v_rndne_f32_e32 v16, v10
	v_fmac_f32_e32 v15, 0x32a5705f, v0
	v_sub_f32_e32 v10, v10, v16
	v_sub_f32_e32 v1, v1, v8
	v_add_f32_e32 v10, v10, v15
	v_cvt_i32_f32_e32 v15, v16
	v_mul_f32_e32 v16, 0x3fb8aa3b, v1
	v_fma_f32 v17, v1, s16, -v16
	v_rndne_f32_e32 v18, v16
	v_exp_f32_e32 v10, v10
	v_fmac_f32_e32 v17, 0x32a5705f, v1
	v_sub_f32_e32 v16, v16, v18
	v_add_f32_e32 v16, v16, v17
	v_exp_f32_e32 v16, v16
	v_cvt_i32_f32_e32 v17, v18
	v_ldexp_f32 v10, v10, v15
	v_cmp_ngt_f32_e32 vcc, s17, v0
	v_cndmask_b32_e32 v10, 0, v10, vcc
	v_mov_b32_e32 v15, 0x7f800000
	v_cmp_nlt_f32_e32 vcc, s20, v0
	v_sub_f32_e32 v2, v2, v8
	v_cndmask_b32_e32 v0, v15, v10, vcc
	v_ldexp_f32 v10, v16, v17
	v_mul_f32_e32 v16, 0x3fb8aa3b, v2
	v_fma_f32 v17, v2, s16, -v16
	v_rndne_f32_e32 v18, v16
	v_fmac_f32_e32 v17, 0x32a5705f, v2
	v_sub_f32_e32 v16, v16, v18
	v_add_f32_e32 v16, v16, v17
	v_exp_f32_e32 v16, v16
	v_cvt_i32_f32_e32 v17, v18
	v_sub_f32_e32 v3, v3, v8
	v_cmp_ngt_f32_e32 vcc, s17, v1
	v_cndmask_b32_e32 v10, 0, v10, vcc
	v_ldexp_f32 v16, v16, v17
	v_mul_f32_e32 v17, 0x3fb8aa3b, v3
	v_fma_f32 v18, v3, s16, -v17
	v_rndne_f32_e32 v19, v17
	v_fmac_f32_e32 v18, 0x32a5705f, v3
	v_sub_f32_e32 v17, v17, v19
	v_cmp_nlt_f32_e32 vcc, s20, v1
	v_add_f32_e32 v17, v17, v18
	v_cndmask_b32_e64 v0, 0, v0, s[14:15]
	v_cndmask_b32_e32 v1, v15, v10, vcc
	v_cmp_ngt_f32_e32 vcc, s17, v2
	v_exp_f32_e32 v17, v17
	v_cvt_i32_f32_e32 v18, v19
	v_add_f32_e32 v10, v1, v0
	v_cndmask_b32_e32 v16, 0, v16, vcc
	v_cmp_nlt_f32_e32 vcc, s20, v2
	v_cndmask_b32_e64 v10, v0, v10, s[12:13]
	v_cndmask_b32_e32 v2, v15, v16, vcc
	v_add_f32_e32 v16, v10, v2
	v_sub_f32_e32 v4, v4, v8
	v_cndmask_b32_e64 v10, v10, v16, s[10:11]
	v_ldexp_f32 v16, v17, v18
	v_mul_f32_e32 v17, 0x3fb8aa3b, v4
	v_fma_f32 v18, v4, s16, -v17
	v_rndne_f32_e32 v19, v17
	v_fmac_f32_e32 v18, 0x32a5705f, v4
	v_sub_f32_e32 v17, v17, v19
	v_add_f32_e32 v17, v17, v18
	v_cmp_ngt_f32_e32 vcc, s17, v3
	v_exp_f32_e32 v17, v17
	v_cvt_i32_f32_e32 v18, v19
	v_cndmask_b32_e32 v16, 0, v16, vcc
	v_cmp_nlt_f32_e32 vcc, s20, v3
	v_cndmask_b32_e32 v3, v15, v16, vcc
	v_add_f32_e32 v16, v10, v3
	v_sub_f32_e32 v5, v5, v8
	v_cndmask_b32_e64 v10, v10, v16, s[8:9]
	v_ldexp_f32 v16, v17, v18
	v_mul_f32_e32 v17, 0x3fb8aa3b, v5
	v_fma_f32 v18, v5, s16, -v17
	v_rndne_f32_e32 v19, v17
	v_fmac_f32_e32 v18, 0x32a5705f, v5
	v_sub_f32_e32 v17, v17, v19
	v_add_f32_e32 v17, v17, v18
	v_cmp_ngt_f32_e32 vcc, s17, v4
	v_exp_f32_e32 v17, v17
	v_cvt_i32_f32_e32 v18, v19
	v_cndmask_b32_e32 v16, 0, v16, vcc
	v_cmp_nlt_f32_e32 vcc, s20, v4
	;; [unrolled: 16-line block ×3, first 2 shown]
	v_cndmask_b32_e32 v5, v15, v16, vcc
	v_sub_f32_e32 v7, v7, v8
	v_add_f32_e32 v16, v10, v5
	v_mul_f32_e32 v8, 0x3fb8aa3b, v7
	v_cndmask_b32_e64 v10, v10, v16, s[4:5]
	v_ldexp_f32 v16, v17, v18
	v_fma_f32 v17, v7, s16, -v8
	v_rndne_f32_e32 v18, v8
	v_fmac_f32_e32 v17, 0x32a5705f, v7
	v_sub_f32_e32 v8, v8, v18
	v_add_f32_e32 v8, v8, v17
	v_exp_f32_e32 v8, v8
	v_cvt_i32_f32_e32 v17, v18
	v_cmp_ngt_f32_e32 vcc, s17, v6
	v_cndmask_b32_e32 v16, 0, v16, vcc
	v_cmp_nlt_f32_e32 vcc, s20, v6
	v_cndmask_b32_e32 v6, v15, v16, vcc
	v_ldexp_f32 v8, v8, v17
	v_cmp_ngt_f32_e32 vcc, s17, v7
	v_add_f32_e32 v16, v10, v6
	v_cndmask_b32_e32 v8, 0, v8, vcc
	v_cmp_nlt_f32_e32 vcc, s20, v7
	v_cndmask_b32_e64 v10, v10, v16, s[2:3]
	v_cndmask_b32_e32 v7, v15, v8, vcc
	v_add_f32_e32 v8, v10, v7
	v_cndmask_b32_e64 v8, v10, v8, s[0:1]
	ds_bpermute_b32 v10, v11, v8
	v_cndmask_b32_e64 v1, 0, v1, s[12:13]
	v_cndmask_b32_e64 v2, 0, v2, s[10:11]
	;; [unrolled: 1-line block ×4, first 2 shown]
	s_waitcnt lgkmcnt(0)
	v_add_f32_e32 v8, v8, v10
	ds_bpermute_b32 v10, v12, v8
	v_cndmask_b32_e64 v5, 0, v5, s[4:5]
	v_cndmask_b32_e64 v6, 0, v6, s[2:3]
	;; [unrolled: 1-line block ×3, first 2 shown]
	s_waitcnt lgkmcnt(0)
	v_add_f32_e32 v8, v8, v10
	ds_bpermute_b32 v10, v13, v8
	s_waitcnt lgkmcnt(0)
	v_add_f32_e32 v8, v8, v10
	ds_bpermute_b32 v10, v14, v8
	;; [unrolled: 3-line block ×3, first 2 shown]
	s_waitcnt lgkmcnt(0)
	v_add_f32_e32 v8, v8, v9
	v_div_scale_f32 v9, s[16:17], v8, v8, 1.0
	v_rcp_f32_e32 v10, v9
	v_fma_f32 v11, -v9, v10, 1.0
	v_fmac_f32_e32 v10, v11, v10
	v_div_scale_f32 v11, vcc, 1.0, v8, 1.0
	v_mul_f32_e32 v12, v11, v10
	v_fma_f32 v13, -v9, v12, v11
	v_fmac_f32_e32 v12, v13, v10
	v_fma_f32 v9, -v9, v12, v11
	v_div_fmas_f32 v9, v9, v10, v12
	v_div_fixup_f32 v8, v9, v8, 1.0
	v_mul_f32_e32 v9, v0, v8
	v_cndmask_b32_e64 v0, v0, v9, s[14:15]
	v_mul_f32_e32 v9, v1, v8
	v_cndmask_b32_e64 v1, v1, v9, s[12:13]
	;; [unrolled: 2-line block ×6, first 2 shown]
	v_mul_f32_e32 v9, v6, v8
	v_mul_f32_e32 v8, v7, v8
	v_cndmask_b32_e64 v6, v6, v9, s[2:3]
	v_cndmask_b32_e64 v7, v7, v8, s[0:1]
.LBB8_37:
	v_mul_lo_u32 v8, v31, s25
	v_ashrrev_i32_e32 v9, 31, v8
	v_lshlrev_b64 v[8:9], 2, v[8:9]
	s_waitcnt vmcnt(1)
	v_mov_b32_e32 v10, s19
	v_add_co_u32_e32 v8, vcc, s18, v8
	v_addc_co_u32_e32 v9, vcc, v10, v9, vcc
	v_cmp_gt_i32_e32 vcc, s25, v32
	s_and_saveexec_b64 s[0:1], vcc
	s_cbranch_execnz .LBB8_47
; %bb.38:
	s_or_b64 exec, exec, s[0:1]
	v_cmp_gt_i32_e32 vcc, s25, v39
	s_and_saveexec_b64 s[0:1], vcc
	s_cbranch_execnz .LBB8_48
.LBB8_39:
	s_or_b64 exec, exec, s[0:1]
	v_cmp_gt_i32_e32 vcc, s25, v38
	s_and_saveexec_b64 s[0:1], vcc
	s_cbranch_execnz .LBB8_49
.LBB8_40:
	s_or_b64 exec, exec, s[0:1]
	v_cmp_gt_i32_e32 vcc, s25, v37
	s_and_saveexec_b64 s[0:1], vcc
	s_cbranch_execnz .LBB8_50
.LBB8_41:
	s_or_b64 exec, exec, s[0:1]
	v_cmp_gt_i32_e32 vcc, s25, v36
	s_and_saveexec_b64 s[0:1], vcc
	s_cbranch_execnz .LBB8_51
.LBB8_42:
	s_or_b64 exec, exec, s[0:1]
	v_cmp_gt_i32_e32 vcc, s25, v35
	s_and_saveexec_b64 s[0:1], vcc
	s_cbranch_execnz .LBB8_52
.LBB8_43:
	s_or_b64 exec, exec, s[0:1]
	v_cmp_gt_i32_e32 vcc, s25, v34
	s_and_saveexec_b64 s[0:1], vcc
	s_cbranch_execnz .LBB8_53
.LBB8_44:
	s_or_b64 exec, exec, s[0:1]
	v_cmp_gt_i32_e32 vcc, s25, v33
	s_and_b64 exec, exec, vcc
	s_cbranch_execz .LBB8_46
.LBB8_45:
	v_add_co_u32_e32 v0, vcc, v8, v29
	v_addc_co_u32_e32 v1, vcc, 0, v9, vcc
	v_mul_f32_e32 v2, s27, v7
	global_store_dword v[0:1], v2, off offset:896
.LBB8_46:
	s_endpgm
.LBB8_47:
	v_add_co_u32_e32 v10, vcc, v8, v29
	s_waitcnt vmcnt(0)
	v_addc_co_u32_e32 v11, vcc, 0, v9, vcc
	v_mul_f32_e32 v0, s27, v0
	global_store_dword v[10:11], v0, off
	s_or_b64 exec, exec, s[0:1]
	v_cmp_gt_i32_e32 vcc, s25, v39
	s_and_saveexec_b64 s[0:1], vcc
	s_cbranch_execz .LBB8_39
.LBB8_48:
	v_add_co_u32_e32 v10, vcc, v8, v29
	s_waitcnt vmcnt(0)
	v_addc_co_u32_e32 v11, vcc, 0, v9, vcc
	v_mul_f32_e32 v0, s27, v1
	global_store_dword v[10:11], v0, off offset:128
	s_or_b64 exec, exec, s[0:1]
	v_cmp_gt_i32_e32 vcc, s25, v38
	s_and_saveexec_b64 s[0:1], vcc
	s_cbranch_execz .LBB8_40
.LBB8_49:
	v_add_co_u32_e32 v0, vcc, v8, v29
	v_addc_co_u32_e32 v1, vcc, 0, v9, vcc
	v_mul_f32_e32 v2, s27, v2
	global_store_dword v[0:1], v2, off offset:256
	s_or_b64 exec, exec, s[0:1]
	v_cmp_gt_i32_e32 vcc, s25, v37
	s_and_saveexec_b64 s[0:1], vcc
	s_cbranch_execz .LBB8_41
.LBB8_50:
	v_add_co_u32_e32 v0, vcc, v8, v29
	v_addc_co_u32_e32 v1, vcc, 0, v9, vcc
	v_mul_f32_e32 v2, s27, v3
	global_store_dword v[0:1], v2, off offset:384
	s_or_b64 exec, exec, s[0:1]
	v_cmp_gt_i32_e32 vcc, s25, v36
	s_and_saveexec_b64 s[0:1], vcc
	s_cbranch_execz .LBB8_42
.LBB8_51:
	v_add_co_u32_e32 v0, vcc, v8, v29
	v_addc_co_u32_e32 v1, vcc, 0, v9, vcc
	v_mul_f32_e32 v2, s27, v4
	global_store_dword v[0:1], v2, off offset:512
	s_or_b64 exec, exec, s[0:1]
	v_cmp_gt_i32_e32 vcc, s25, v35
	s_and_saveexec_b64 s[0:1], vcc
	s_cbranch_execz .LBB8_43
.LBB8_52:
	v_add_co_u32_e32 v0, vcc, v8, v29
	v_addc_co_u32_e32 v1, vcc, 0, v9, vcc
	v_mul_f32_e32 v2, s27, v5
	global_store_dword v[0:1], v2, off offset:640
	s_or_b64 exec, exec, s[0:1]
	v_cmp_gt_i32_e32 vcc, s25, v34
	s_and_saveexec_b64 s[0:1], vcc
	s_cbranch_execz .LBB8_44
.LBB8_53:
	v_add_co_u32_e32 v0, vcc, v8, v29
	v_addc_co_u32_e32 v1, vcc, 0, v9, vcc
	v_mul_f32_e32 v2, s27, v6
	global_store_dword v[0:1], v2, off offset:768
	s_or_b64 exec, exec, s[0:1]
	v_cmp_gt_i32_e32 vcc, s25, v33
	s_and_b64 exec, exec, vcc
	s_cbranch_execnz .LBB8_45
	s_branch .LBB8_46
	.section	.rodata,"a",@progbits
	.p2align	6, 0x0
	.amdhsa_kernel _Z13topk_moe_cudaILi256ELb1EEvPKfPfPiS2_iiff15topk_moe_config
		.amdhsa_group_segment_fixed_size 0
		.amdhsa_private_segment_fixed_size 0
		.amdhsa_kernarg_size 312
		.amdhsa_user_sgpr_count 6
		.amdhsa_user_sgpr_private_segment_buffer 1
		.amdhsa_user_sgpr_dispatch_ptr 0
		.amdhsa_user_sgpr_queue_ptr 0
		.amdhsa_user_sgpr_kernarg_segment_ptr 1
		.amdhsa_user_sgpr_dispatch_id 0
		.amdhsa_user_sgpr_flat_scratch_init 0
		.amdhsa_user_sgpr_kernarg_preload_length 0
		.amdhsa_user_sgpr_kernarg_preload_offset 0
		.amdhsa_user_sgpr_private_segment_size 0
		.amdhsa_uses_dynamic_stack 0
		.amdhsa_system_sgpr_private_segment_wavefront_offset 0
		.amdhsa_system_sgpr_workgroup_id_x 1
		.amdhsa_system_sgpr_workgroup_id_y 0
		.amdhsa_system_sgpr_workgroup_id_z 0
		.amdhsa_system_sgpr_workgroup_info 0
		.amdhsa_system_vgpr_workitem_id 1
		.amdhsa_next_free_vgpr 52
		.amdhsa_next_free_sgpr 28
		.amdhsa_accum_offset 52
		.amdhsa_reserve_vcc 1
		.amdhsa_reserve_flat_scratch 0
		.amdhsa_float_round_mode_32 0
		.amdhsa_float_round_mode_16_64 0
		.amdhsa_float_denorm_mode_32 3
		.amdhsa_float_denorm_mode_16_64 3
		.amdhsa_dx10_clamp 1
		.amdhsa_ieee_mode 1
		.amdhsa_fp16_overflow 0
		.amdhsa_tg_split 0
		.amdhsa_exception_fp_ieee_invalid_op 0
		.amdhsa_exception_fp_denorm_src 0
		.amdhsa_exception_fp_ieee_div_zero 0
		.amdhsa_exception_fp_ieee_overflow 0
		.amdhsa_exception_fp_ieee_underflow 0
		.amdhsa_exception_fp_ieee_inexact 0
		.amdhsa_exception_int_div_zero 0
	.end_amdhsa_kernel
	.section	.text._Z13topk_moe_cudaILi256ELb1EEvPKfPfPiS2_iiff15topk_moe_config,"axG",@progbits,_Z13topk_moe_cudaILi256ELb1EEvPKfPfPiS2_iiff15topk_moe_config,comdat
.Lfunc_end8:
	.size	_Z13topk_moe_cudaILi256ELb1EEvPKfPfPiS2_iiff15topk_moe_config, .Lfunc_end8-_Z13topk_moe_cudaILi256ELb1EEvPKfPfPiS2_iiff15topk_moe_config
                                        ; -- End function
	.section	.AMDGPU.csdata,"",@progbits
; Kernel info:
; codeLenInByte = 6548
; NumSgprs: 32
; NumVgprs: 52
; NumAgprs: 0
; TotalNumVgprs: 52
; ScratchSize: 0
; MemoryBound: 0
; FloatMode: 240
; IeeeMode: 1
; LDSByteSize: 0 bytes/workgroup (compile time only)
; SGPRBlocks: 3
; VGPRBlocks: 6
; NumSGPRsForWavesPerEU: 32
; NumVGPRsForWavesPerEU: 52
; AccumOffset: 52
; Occupancy: 8
; WaveLimiterHint : 1
; COMPUTE_PGM_RSRC2:SCRATCH_EN: 0
; COMPUTE_PGM_RSRC2:USER_SGPR: 6
; COMPUTE_PGM_RSRC2:TRAP_HANDLER: 0
; COMPUTE_PGM_RSRC2:TGID_X_EN: 1
; COMPUTE_PGM_RSRC2:TGID_Y_EN: 0
; COMPUTE_PGM_RSRC2:TGID_Z_EN: 0
; COMPUTE_PGM_RSRC2:TIDIG_COMP_CNT: 1
; COMPUTE_PGM_RSRC3_GFX90A:ACCUM_OFFSET: 12
; COMPUTE_PGM_RSRC3_GFX90A:TG_SPLIT: 0
	.section	.text._Z13topk_moe_cudaILi512ELb1EEvPKfPfPiS2_iiff15topk_moe_config,"axG",@progbits,_Z13topk_moe_cudaILi512ELb1EEvPKfPfPiS2_iiff15topk_moe_config,comdat
	.protected	_Z13topk_moe_cudaILi512ELb1EEvPKfPfPiS2_iiff15topk_moe_config ; -- Begin function _Z13topk_moe_cudaILi512ELb1EEvPKfPfPiS2_iiff15topk_moe_config
	.globl	_Z13topk_moe_cudaILi512ELb1EEvPKfPfPiS2_iiff15topk_moe_config
	.p2align	8
	.type	_Z13topk_moe_cudaILi512ELb1EEvPKfPfPiS2_iiff15topk_moe_config,@function
_Z13topk_moe_cudaILi512ELb1EEvPKfPfPiS2_iiff15topk_moe_config: ; @_Z13topk_moe_cudaILi512ELb1EEvPKfPfPiS2_iiff15topk_moe_config
; %bb.0:
	s_load_dword s0, s[4:5], 0x44
	s_load_dwordx4 s[44:47], s[4:5], 0x20
	v_bfe_u32 v1, v0, 10, 10
	s_waitcnt lgkmcnt(0)
	s_lshr_b32 s0, s0, 16
	s_mul_i32 s6, s6, s0
	v_add_u32_e32 v67, s6, v1
	v_cmp_gt_i32_e32 vcc, s44, v67
	s_and_saveexec_b64 s[0:1], vcc
	s_cbranch_execz .LBB9_50
; %bb.1:
	s_load_dwordx8 s[36:43], s[4:5], 0x0
	v_lshlrev_b32_e32 v2, 9, v67
	v_ashrrev_i32_e32 v3, 31, v2
	v_mov_b32_e32 v1, 0
	v_lshlrev_b64 v[16:17], 2, v[2:3]
	global_load_ushort v36, v1, s[4:5] offset:48
	s_waitcnt lgkmcnt(0)
	v_mov_b32_e32 v1, s37
	v_add_co_u32_e32 v2, vcc, s36, v16
	v_and_b32_e32 v68, 0x3ff, v0
	v_addc_co_u32_e32 v1, vcc, v1, v17, vcc
	v_lshlrev_b32_e32 v66, 2, v68
	v_add_co_u32_e32 v0, vcc, v2, v66
	v_addc_co_u32_e32 v1, vcc, 0, v1, vcc
	global_load_dword v32, v[0:1], off
	global_load_dword v33, v[0:1], off offset:128
	global_load_dword v30, v[0:1], off offset:256
	;; [unrolled: 1-line block ×15, first 2 shown]
	s_load_dword s0, s[4:5], 0x30
	s_waitcnt lgkmcnt(0)
	s_bitcmp1_b32 s0, 16
	s_cselect_b64 s[16:17], -1, 0
	s_and_b64 vcc, exec, s[16:17]
	s_cbranch_vccnz .LBB9_7
; %bb.2:
	s_waitcnt vmcnt(16)
	v_and_b32_e32 v0, 1, v36
	v_cmp_eq_u32_e32 vcc, 0, v0
	s_cbranch_vccz .LBB9_4
; %bb.3:
	s_mov_b32 s0, 0xff800000
	s_waitcnt vmcnt(14)
	v_max3_f32 v0, v32, s0, v33
	s_waitcnt vmcnt(12)
	v_max3_f32 v0, v0, v30, v31
	v_mbcnt_lo_u32_b32 v1, -1, 0
	s_waitcnt vmcnt(10)
	v_max3_f32 v0, v0, v28, v29
	v_mbcnt_hi_u32_b32 v1, -1, v1
	s_waitcnt vmcnt(8)
	v_max3_f32 v0, v0, v26, v27
	v_and_b32_e32 v2, 0x60, v1
	s_waitcnt vmcnt(6)
	v_max3_f32 v0, v0, v24, v25
	v_add_u32_e32 v2, 32, v2
	v_xor_b32_e32 v3, 16, v1
	s_waitcnt vmcnt(4)
	v_max3_f32 v0, v0, v22, v23
	v_cmp_lt_i32_e32 vcc, v3, v2
	s_waitcnt vmcnt(2)
	v_max3_f32 v0, v0, v20, v21
	v_cndmask_b32_e32 v3, v1, v3, vcc
	s_waitcnt vmcnt(0)
	v_max3_f32 v0, v0, v18, v19
	v_lshlrev_b32_e32 v37, 2, v3
	ds_bpermute_b32 v3, v37, v0
	s_mov_b32 s2, 0x3fb8aa3b
	s_mov_b32 s0, 0xc2ce8ed0
	;; [unrolled: 1-line block ×3, first 2 shown]
	v_mov_b32_e32 v42, 0x7f800000
	s_waitcnt lgkmcnt(0)
	v_max_f32_e32 v3, v3, v3
	v_max_f32_e32 v0, v0, v3
	v_xor_b32_e32 v3, 8, v1
	v_cmp_lt_i32_e32 vcc, v3, v2
	v_cndmask_b32_e32 v3, v1, v3, vcc
	v_lshlrev_b32_e32 v38, 2, v3
	ds_bpermute_b32 v3, v38, v0
	s_waitcnt lgkmcnt(0)
	v_max_f32_e32 v3, v3, v3
	v_max_f32_e32 v0, v0, v3
	v_xor_b32_e32 v3, 4, v1
	v_cmp_lt_i32_e32 vcc, v3, v2
	v_cndmask_b32_e32 v3, v1, v3, vcc
	v_lshlrev_b32_e32 v39, 2, v3
	ds_bpermute_b32 v3, v39, v0
	;; [unrolled: 8-line block ×4, first 2 shown]
	s_waitcnt lgkmcnt(0)
	v_max_f32_e32 v1, v1, v1
	v_max_f32_e32 v4, v0, v1
	v_pk_add_f32 v[0:1], v[32:33], v[4:5] op_sel_hi:[1,0] neg_lo:[0,1] neg_hi:[0,1]
	v_mul_f32_e32 v2, 0x3fb8aa3b, v1
	v_fma_f32 v3, v1, s2, -v2
	v_rndne_f32_e32 v5, v2
	v_fmac_f32_e32 v3, 0x32a5705f, v1
	v_sub_f32_e32 v2, v2, v5
	v_add_f32_e32 v2, v2, v3
	v_exp_f32_e32 v2, v2
	v_cvt_i32_f32_e32 v3, v5
	v_cmp_ngt_f32_e32 vcc, s0, v1
	v_ldexp_f32 v2, v2, v3
	v_mul_f32_e32 v3, 0x3fb8aa3b, v0
	v_fma_f32 v5, v0, s2, -v3
	v_rndne_f32_e32 v6, v3
	v_fmac_f32_e32 v5, 0x32a5705f, v0
	v_sub_f32_e32 v3, v3, v6
	v_add_f32_e32 v3, v3, v5
	v_exp_f32_e32 v3, v3
	v_cvt_i32_f32_e32 v5, v6
	v_cndmask_b32_e32 v2, 0, v2, vcc
	v_cmp_nlt_f32_e32 vcc, s1, v1
	v_cndmask_b32_e32 v1, v42, v2, vcc
	v_ldexp_f32 v5, v3, v5
	v_pk_add_f32 v[2:3], v[30:31], v[4:5] op_sel_hi:[1,0] neg_lo:[0,1] neg_hi:[0,1]
	v_mul_f32_e32 v6, 0x3fb8aa3b, v3
	v_fma_f32 v7, v3, s2, -v6
	v_rndne_f32_e32 v8, v6
	v_fmac_f32_e32 v7, 0x32a5705f, v3
	v_sub_f32_e32 v6, v6, v8
	v_add_f32_e32 v6, v6, v7
	v_exp_f32_e32 v6, v6
	v_cvt_i32_f32_e32 v7, v8
	v_cmp_ngt_f32_e32 vcc, s0, v0
	v_cndmask_b32_e32 v5, 0, v5, vcc
	v_cmp_nlt_f32_e32 vcc, s1, v0
	v_cndmask_b32_e32 v0, v42, v5, vcc
	v_ldexp_f32 v5, v6, v7
	v_mul_f32_e32 v6, 0x3fb8aa3b, v2
	v_fma_f32 v7, v2, s2, -v6
	v_rndne_f32_e32 v8, v6
	v_fmac_f32_e32 v7, 0x32a5705f, v2
	v_sub_f32_e32 v6, v6, v8
	v_add_f32_e32 v6, v6, v7
	v_exp_f32_e32 v6, v6
	v_cvt_i32_f32_e32 v7, v8
	v_cmp_ngt_f32_e32 vcc, s0, v3
	v_cndmask_b32_e32 v5, 0, v5, vcc
	v_cmp_nlt_f32_e32 vcc, s1, v3
	v_cndmask_b32_e32 v3, v42, v5, vcc
	v_ldexp_f32 v5, v6, v7
	v_pk_add_f32 v[6:7], v[28:29], v[4:5] op_sel_hi:[1,0] neg_lo:[0,1] neg_hi:[0,1]
	v_mul_f32_e32 v8, 0x3fb8aa3b, v7
	v_fma_f32 v9, v7, s2, -v8
	v_rndne_f32_e32 v10, v8
	v_fmac_f32_e32 v9, 0x32a5705f, v7
	v_sub_f32_e32 v8, v8, v10
	v_add_f32_e32 v8, v8, v9
	v_exp_f32_e32 v8, v8
	v_cvt_i32_f32_e32 v9, v10
	v_cmp_ngt_f32_e32 vcc, s0, v2
	v_cndmask_b32_e32 v5, 0, v5, vcc
	v_cmp_nlt_f32_e32 vcc, s1, v2
	v_cndmask_b32_e32 v2, v42, v5, vcc
	v_ldexp_f32 v5, v8, v9
	v_mul_f32_e32 v8, 0x3fb8aa3b, v6
	v_fma_f32 v9, v6, s2, -v8
	v_rndne_f32_e32 v10, v8
	v_fmac_f32_e32 v9, 0x32a5705f, v6
	v_sub_f32_e32 v8, v8, v10
	v_add_f32_e32 v8, v8, v9
	v_exp_f32_e32 v8, v8
	v_cvt_i32_f32_e32 v9, v10
	v_cmp_ngt_f32_e32 vcc, s0, v7
	;; [unrolled: 27-line block ×4, first 2 shown]
	v_cndmask_b32_e32 v5, 0, v5, vcc
	v_cmp_nlt_f32_e32 vcc, s1, v11
	v_cndmask_b32_e32 v13, v42, v5, vcc
	v_ldexp_f32 v5, v12, v14
	v_pk_add_f32 v[14:15], v[22:23], v[4:5] op_sel_hi:[1,0] neg_lo:[0,1] neg_hi:[0,1]
	v_mul_f32_e32 v11, 0x3fb8aa3b, v15
	v_fma_f32 v12, v15, s2, -v11
	v_rndne_f32_e32 v34, v11
	v_fmac_f32_e32 v12, 0x32a5705f, v15
	v_sub_f32_e32 v11, v11, v34
	v_add_f32_e32 v11, v11, v12
	v_exp_f32_e32 v11, v11
	v_cvt_i32_f32_e32 v34, v34
	v_cmp_ngt_f32_e32 vcc, s0, v10
	v_cndmask_b32_e32 v5, 0, v5, vcc
	v_cmp_nlt_f32_e32 vcc, s1, v10
	v_mul_f32_e32 v10, 0x3fb8aa3b, v14
	v_cndmask_b32_e32 v12, v42, v5, vcc
	v_ldexp_f32 v5, v11, v34
	v_fma_f32 v11, v14, s2, -v10
	v_rndne_f32_e32 v34, v10
	v_fmac_f32_e32 v11, 0x32a5705f, v14
	v_sub_f32_e32 v10, v10, v34
	v_add_f32_e32 v10, v10, v11
	v_exp_f32_e32 v10, v10
	v_cvt_i32_f32_e32 v11, v34
	v_cmp_ngt_f32_e32 vcc, s0, v15
	v_cndmask_b32_e32 v5, 0, v5, vcc
	v_cmp_nlt_f32_e32 vcc, s1, v15
	v_cndmask_b32_e32 v15, v42, v5, vcc
	v_ldexp_f32 v5, v10, v11
	v_pk_add_f32 v[10:11], v[20:21], v[4:5] op_sel_hi:[1,0] neg_lo:[0,1] neg_hi:[0,1]
	v_mul_f32_e32 v34, 0x3fb8aa3b, v11
	v_fma_f32 v35, v11, s2, -v34
	v_rndne_f32_e32 v43, v34
	v_fmac_f32_e32 v35, 0x32a5705f, v11
	v_sub_f32_e32 v34, v34, v43
	v_add_f32_e32 v34, v34, v35
	v_exp_f32_e32 v34, v34
	v_cvt_i32_f32_e32 v35, v43
	v_cmp_ngt_f32_e32 vcc, s0, v14
	v_cndmask_b32_e32 v5, 0, v5, vcc
	v_cmp_nlt_f32_e32 vcc, s1, v14
	v_cndmask_b32_e32 v14, v42, v5, vcc
	v_ldexp_f32 v5, v34, v35
	v_mul_f32_e32 v34, 0x3fb8aa3b, v10
	v_fma_f32 v35, v10, s2, -v34
	v_rndne_f32_e32 v43, v34
	v_fmac_f32_e32 v35, 0x32a5705f, v10
	v_sub_f32_e32 v34, v34, v43
	v_add_f32_e32 v34, v34, v35
	v_exp_f32_e32 v34, v34
	v_cvt_i32_f32_e32 v35, v43
	v_cmp_ngt_f32_e32 vcc, s0, v11
	v_cndmask_b32_e32 v5, 0, v5, vcc
	v_cmp_nlt_f32_e32 vcc, s1, v11
	v_cndmask_b32_e32 v5, v42, v5, vcc
	v_ldexp_f32 v11, v34, v35
	v_pk_add_f32 v[34:35], v[18:19], v[4:5] op_sel_hi:[1,0] neg_lo:[0,1] neg_hi:[0,1]
	v_mul_f32_e32 v4, 0x3fb8aa3b, v35
	v_fma_f32 v43, v35, s2, -v4
	v_rndne_f32_e32 v44, v4
	v_fmac_f32_e32 v43, 0x32a5705f, v35
	v_sub_f32_e32 v4, v4, v44
	v_add_f32_e32 v4, v4, v43
	v_exp_f32_e32 v43, v4
	v_cvt_i32_f32_e32 v44, v44
	v_cmp_ngt_f32_e32 vcc, s0, v10
	v_cndmask_b32_e32 v4, 0, v11, vcc
	v_mul_f32_e32 v11, 0x3fb8aa3b, v34
	v_cmp_nlt_f32_e32 vcc, s1, v10
	v_ldexp_f32 v10, v43, v44
	v_fma_f32 v43, v34, s2, -v11
	v_rndne_f32_e32 v44, v11
	v_fmac_f32_e32 v43, 0x32a5705f, v34
	v_sub_f32_e32 v11, v11, v44
	v_add_f32_e32 v11, v11, v43
	v_exp_f32_e32 v43, v11
	v_cvt_i32_f32_e32 v44, v44
	v_cndmask_b32_e32 v4, v42, v4, vcc
	v_cmp_ngt_f32_e32 vcc, s0, v35
	v_cndmask_b32_e32 v10, 0, v10, vcc
	v_cmp_nlt_f32_e32 vcc, s1, v35
	v_cndmask_b32_e32 v11, v42, v10, vcc
	v_ldexp_f32 v10, v43, v44
	v_cmp_ngt_f32_e32 vcc, s0, v34
	v_cndmask_b32_e32 v10, 0, v10, vcc
	v_cmp_nlt_f32_e32 vcc, s1, v34
	v_add_f32_e32 v34, v0, v1
	v_add_f32_e32 v34, v2, v34
	;; [unrolled: 1-line block ×12, first 2 shown]
	v_cndmask_b32_e32 v10, v42, v10, vcc
	v_add_f32_e32 v34, v5, v34
	v_add_f32_e32 v34, v10, v34
	;; [unrolled: 1-line block ×3, first 2 shown]
	ds_bpermute_b32 v35, v37, v34
	s_waitcnt lgkmcnt(0)
	v_add_f32_e32 v34, v34, v35
	ds_bpermute_b32 v35, v38, v34
	s_waitcnt lgkmcnt(0)
	v_add_f32_e32 v34, v34, v35
	;; [unrolled: 3-line block ×5, first 2 shown]
	v_div_scale_f32 v35, s[0:1], v34, v34, 1.0
	v_rcp_f32_e32 v37, v35
	v_fma_f32 v38, -v35, v37, 1.0
	v_fmac_f32_e32 v37, v38, v37
	v_div_scale_f32 v38, vcc, 1.0, v34, 1.0
	v_mul_f32_e32 v39, v38, v37
	v_fma_f32 v40, -v35, v39, v38
	v_fmac_f32_e32 v39, v40, v37
	v_fma_f32 v35, -v35, v39, v38
	v_div_fmas_f32 v35, v35, v37, v39
	v_div_fixup_f32 v38, v35, v34, 1.0
	v_pk_mul_f32 v[34:35], v[10:11], v[38:39] op_sel_hi:[1,0]
	v_pk_mul_f32 v[10:11], v[4:5], v[38:39] op_sel_hi:[1,0]
	;; [unrolled: 1-line block ×8, first 2 shown]
	s_cbranch_execz .LBB9_5
	s_branch .LBB9_6
.LBB9_4:
                                        ; implicit-def: $vgpr35
                                        ; implicit-def: $vgpr11
                                        ; implicit-def: $vgpr15
                                        ; implicit-def: $vgpr13
                                        ; implicit-def: $vgpr9
                                        ; implicit-def: $vgpr5
                                        ; implicit-def: $vgpr3
                                        ; implicit-def: $vgpr1
.LBB9_5:
	s_waitcnt vmcnt(14)
	v_mul_f32_e32 v0, 0xbfb8aa3b, v33
	s_mov_b32 s0, 0xbfb8aa3b
	v_rndne_f32_e32 v1, v0
	v_sub_f32_e32 v2, v0, v1
	v_fma_f32 v0, v33, s0, -v0
	v_fmac_f32_e32 v0, 0xb2a5705f, v33
	v_add_f32_e32 v0, v2, v0
	v_exp_f32_e32 v0, v0
	v_cvt_i32_f32_e32 v1, v1
	s_mov_b32 s1, 0x42ce8ed0
	v_cmp_nlt_f32_e32 vcc, s1, v33
	s_mov_b32 s2, 0xc2b17218
	v_ldexp_f32 v0, v0, v1
	v_mul_f32_e32 v1, 0xbfb8aa3b, v32
	v_rndne_f32_e32 v2, v1
	v_sub_f32_e32 v3, v1, v2
	v_fma_f32 v1, v32, s0, -v1
	v_fmac_f32_e32 v1, 0xb2a5705f, v32
	v_add_f32_e32 v1, v3, v1
	v_exp_f32_e32 v3, v1
	v_cvt_i32_f32_e32 v2, v2
	v_cndmask_b32_e32 v0, 0, v0, vcc
	v_mov_b32_e32 v6, 0x7f800000
	v_cmp_ngt_f32_e32 vcc, s2, v33
	v_cndmask_b32_e32 v1, v6, v0, vcc
	v_ldexp_f32 v0, v3, v2
	s_waitcnt vmcnt(12)
	v_mul_f32_e32 v2, 0xbfb8aa3b, v31
	v_rndne_f32_e32 v3, v2
	v_sub_f32_e32 v4, v2, v3
	v_fma_f32 v2, v31, s0, -v2
	v_fmac_f32_e32 v2, 0xb2a5705f, v31
	v_add_f32_e32 v2, v4, v2
	v_exp_f32_e32 v2, v2
	v_cvt_i32_f32_e32 v3, v3
	v_cmp_nlt_f32_e32 vcc, s1, v32
	v_cndmask_b32_e32 v0, 0, v0, vcc
	v_cmp_ngt_f32_e32 vcc, s2, v32
	v_ldexp_f32 v2, v2, v3
	v_mul_f32_e32 v3, 0xbfb8aa3b, v30
	v_rndne_f32_e32 v4, v3
	v_sub_f32_e32 v5, v3, v4
	v_fma_f32 v3, v30, s0, -v3
	v_fmac_f32_e32 v3, 0xb2a5705f, v30
	v_add_f32_e32 v3, v5, v3
	v_exp_f32_e32 v5, v3
	v_cvt_i32_f32_e32 v4, v4
	v_cndmask_b32_e32 v0, v6, v0, vcc
	v_cmp_nlt_f32_e32 vcc, s1, v31
	v_cndmask_b32_e32 v2, 0, v2, vcc
	v_cmp_ngt_f32_e32 vcc, s2, v31
	v_cndmask_b32_e32 v3, v6, v2, vcc
	v_ldexp_f32 v2, v5, v4
	s_waitcnt vmcnt(10)
	v_mul_f32_e32 v4, 0xbfb8aa3b, v29
	v_rndne_f32_e32 v5, v4
	v_sub_f32_e32 v7, v4, v5
	v_fma_f32 v4, v29, s0, -v4
	v_fmac_f32_e32 v4, 0xb2a5705f, v29
	v_add_f32_e32 v4, v7, v4
	v_exp_f32_e32 v4, v4
	v_cvt_i32_f32_e32 v5, v5
	v_cmp_nlt_f32_e32 vcc, s1, v30
	v_cndmask_b32_e32 v2, 0, v2, vcc
	v_cmp_ngt_f32_e32 vcc, s2, v30
	v_ldexp_f32 v4, v4, v5
	v_mul_f32_e32 v5, 0xbfb8aa3b, v28
	v_rndne_f32_e32 v7, v5
	v_sub_f32_e32 v8, v5, v7
	v_fma_f32 v5, v28, s0, -v5
	v_fmac_f32_e32 v5, 0xb2a5705f, v28
	v_add_f32_e32 v5, v8, v5
	v_exp_f32_e32 v8, v5
	v_cvt_i32_f32_e32 v7, v7
	v_cndmask_b32_e32 v2, v6, v2, vcc
	v_cmp_nlt_f32_e32 vcc, s1, v29
	v_cndmask_b32_e32 v4, 0, v4, vcc
	;; [unrolled: 27-line block ×3, first 2 shown]
	v_cmp_ngt_f32_e32 vcc, s2, v27
	v_cndmask_b32_e32 v9, v6, v7, vcc
	v_ldexp_f32 v7, v8, v10
	s_waitcnt vmcnt(6)
	v_mul_f32_e32 v8, 0xbfb8aa3b, v25
	v_rndne_f32_e32 v10, v8
	v_sub_f32_e32 v11, v8, v10
	v_fma_f32 v8, v25, s0, -v8
	v_fmac_f32_e32 v8, 0xb2a5705f, v25
	v_add_f32_e32 v8, v11, v8
	v_exp_f32_e32 v11, v8
	v_cvt_i32_f32_e32 v10, v10
	v_cmp_nlt_f32_e32 vcc, s1, v26
	v_cndmask_b32_e32 v7, 0, v7, vcc
	v_cmp_ngt_f32_e32 vcc, s2, v26
	v_cndmask_b32_e32 v8, v6, v7, vcc
	v_ldexp_f32 v7, v11, v10
	v_mul_f32_e32 v10, 0xbfb8aa3b, v24
	v_rndne_f32_e32 v11, v10
	v_sub_f32_e32 v12, v10, v11
	v_fma_f32 v10, v24, s0, -v10
	v_fmac_f32_e32 v10, 0xb2a5705f, v24
	v_add_f32_e32 v10, v12, v10
	v_exp_f32_e32 v10, v10
	v_cvt_i32_f32_e32 v11, v11
	v_cmp_nlt_f32_e32 vcc, s1, v25
	v_cndmask_b32_e32 v7, 0, v7, vcc
	v_cmp_ngt_f32_e32 vcc, s2, v25
	v_cndmask_b32_e32 v13, v6, v7, vcc
	v_ldexp_f32 v7, v10, v11
	s_waitcnt vmcnt(4)
	v_mul_f32_e32 v10, 0xbfb8aa3b, v23
	v_rndne_f32_e32 v11, v10
	v_sub_f32_e32 v12, v10, v11
	v_fma_f32 v10, v23, s0, -v10
	v_fmac_f32_e32 v10, 0xb2a5705f, v23
	v_add_f32_e32 v10, v12, v10
	v_exp_f32_e32 v10, v10
	v_cvt_i32_f32_e32 v11, v11
	v_cmp_nlt_f32_e32 vcc, s1, v24
	v_cndmask_b32_e32 v7, 0, v7, vcc
	v_cmp_ngt_f32_e32 vcc, s2, v24
	v_cndmask_b32_e32 v12, v6, v7, vcc
	v_ldexp_f32 v7, v10, v11
	v_mul_f32_e32 v10, 0xbfb8aa3b, v22
	v_rndne_f32_e32 v11, v10
	v_sub_f32_e32 v14, v10, v11
	v_fma_f32 v10, v22, s0, -v10
	v_fmac_f32_e32 v10, 0xb2a5705f, v22
	v_add_f32_e32 v10, v14, v10
	v_exp_f32_e32 v10, v10
	v_cvt_i32_f32_e32 v11, v11
	v_cmp_nlt_f32_e32 vcc, s1, v23
	v_cndmask_b32_e32 v7, 0, v7, vcc
	;; [unrolled: 27-line block ×3, first 2 shown]
	v_cmp_ngt_f32_e32 vcc, s2, v21
	v_cndmask_b32_e32 v11, v6, v7, vcc
	v_ldexp_f32 v7, v10, v22
	s_waitcnt vmcnt(0)
	v_mul_f32_e32 v10, 0xbfb8aa3b, v19
	v_rndne_f32_e32 v21, v10
	v_sub_f32_e32 v22, v10, v21
	v_fma_f32 v10, v19, s0, -v10
	v_fmac_f32_e32 v10, 0xb2a5705f, v19
	v_add_f32_e32 v10, v22, v10
	v_exp_f32_e32 v22, v10
	v_cvt_i32_f32_e32 v21, v21
	v_cmp_nlt_f32_e32 vcc, s1, v20
	v_cndmask_b32_e32 v7, 0, v7, vcc
	v_cmp_ngt_f32_e32 vcc, s2, v20
	v_mul_f32_e32 v20, 0xbfb8aa3b, v18
	v_cndmask_b32_e32 v10, v6, v7, vcc
	v_ldexp_f32 v7, v22, v21
	v_rndne_f32_e32 v21, v20
	v_sub_f32_e32 v22, v20, v21
	v_fma_f32 v20, v18, s0, -v20
	v_fmac_f32_e32 v20, 0xb2a5705f, v18
	v_add_f32_e32 v20, v22, v20
	v_exp_f32_e32 v20, v20
	v_cvt_i32_f32_e32 v21, v21
	v_cmp_nlt_f32_e32 vcc, s1, v19
	v_cndmask_b32_e32 v7, 0, v7, vcc
	v_cmp_ngt_f32_e32 vcc, s2, v19
	v_cndmask_b32_e32 v7, v6, v7, vcc
	v_ldexp_f32 v19, v20, v21
	v_cmp_nlt_f32_e32 vcc, s1, v18
	v_pk_add_f32 v[0:1], v[0:1], 1.0 op_sel_hi:[1,0]
	v_cndmask_b32_e32 v19, 0, v19, vcc
	v_cmp_ngt_f32_e32 vcc, s2, v18
	v_div_scale_f32 v18, s[0:1], v0, v0, 1.0
	v_cndmask_b32_e32 v6, v6, v19, vcc
	v_rcp_f32_e32 v19, v18
	v_pk_add_f32 v[2:3], v[2:3], 1.0 op_sel_hi:[1,0]
	v_pk_add_f32 v[4:5], v[4:5], 1.0 op_sel_hi:[1,0]
	;; [unrolled: 1-line block ×3, first 2 shown]
	v_fma_f32 v20, -v18, v19, 1.0
	v_fmac_f32_e32 v19, v20, v19
	v_div_scale_f32 v20, vcc, 1.0, v0, 1.0
	v_mul_f32_e32 v21, v20, v19
	v_fma_f32 v22, -v18, v21, v20
	v_fmac_f32_e32 v21, v22, v19
	v_fma_f32 v18, -v18, v21, v20
	v_div_scale_f32 v20, s[0:1], v1, v1, 1.0
	v_rcp_f32_e32 v22, v20
	v_div_fmas_f32 v18, v18, v19, v21
	v_div_fixup_f32 v0, v18, v0, 1.0
	v_pk_add_f32 v[12:13], v[12:13], 1.0 op_sel_hi:[1,0]
	v_fma_f32 v18, -v20, v22, 1.0
	v_fmac_f32_e32 v22, v18, v22
	v_div_scale_f32 v18, vcc, 1.0, v1, 1.0
	v_mul_f32_e32 v19, v18, v22
	v_fma_f32 v21, -v20, v19, v18
	v_fmac_f32_e32 v19, v21, v22
	v_fma_f32 v18, -v20, v19, v18
	v_div_scale_f32 v20, s[0:1], v2, v2, 1.0
	v_rcp_f32_e32 v21, v20
	v_div_fmas_f32 v18, v18, v22, v19
	v_div_fixup_f32 v1, v18, v1, 1.0
	v_pk_add_f32 v[14:15], v[14:15], 1.0 op_sel_hi:[1,0]
	;; [unrolled: 12-line block ×4, first 2 shown]
	v_fma_f32 v18, -v20, v21, 1.0
	v_fmac_f32_e32 v21, v18, v21
	v_div_scale_f32 v18, vcc, 1.0, v4, 1.0
	v_mul_f32_e32 v19, v18, v21
	v_fma_f32 v22, -v20, v19, v18
	v_fmac_f32_e32 v19, v22, v21
	v_fma_f32 v18, -v20, v19, v18
	v_div_scale_f32 v20, s[0:1], v5, v5, 1.0
	v_rcp_f32_e32 v22, v20
	v_div_fmas_f32 v18, v18, v21, v19
	v_div_fixup_f32 v4, v18, v4, 1.0
	v_fma_f32 v18, -v20, v22, 1.0
	v_fmac_f32_e32 v22, v18, v22
	v_div_scale_f32 v18, vcc, 1.0, v5, 1.0
	v_mul_f32_e32 v19, v18, v22
	v_fma_f32 v21, -v20, v19, v18
	v_fmac_f32_e32 v19, v21, v22
	v_fma_f32 v18, -v20, v19, v18
	v_div_scale_f32 v20, s[0:1], v8, v8, 1.0
	v_rcp_f32_e32 v21, v20
	v_div_fmas_f32 v18, v18, v22, v19
	v_div_fixup_f32 v5, v18, v5, 1.0
	;; [unrolled: 11-line block ×11, first 2 shown]
	v_fma_f32 v6, -v20, v22, 1.0
	v_fmac_f32_e32 v22, v6, v22
	v_div_scale_f32 v6, vcc, 1.0, v7, 1.0
	v_mul_f32_e32 v18, v6, v22
	v_fma_f32 v19, -v20, v18, v6
	v_fmac_f32_e32 v18, v19, v22
	v_fma_f32 v6, -v20, v18, v6
	v_div_fmas_f32 v6, v6, v22, v18
	v_div_fixup_f32 v35, v6, v7, 1.0
.LBB9_6:
	s_waitcnt vmcnt(15)
	v_mov_b32_e32 v32, v0
	s_waitcnt vmcnt(14)
	v_mov_b32_e32 v33, v1
	s_waitcnt vmcnt(13)
	v_mov_b32_e32 v30, v2
	s_waitcnt vmcnt(12)
	v_mov_b32_e32 v31, v3
	s_waitcnt vmcnt(11)
	v_mov_b32_e32 v28, v4
	s_waitcnt vmcnt(10)
	v_mov_b32_e32 v29, v5
	s_waitcnt vmcnt(9)
	v_mov_b32_e32 v26, v8
	s_waitcnt vmcnt(8)
	v_mov_b32_e32 v27, v9
	s_waitcnt vmcnt(7)
	v_mov_b32_e32 v24, v12
	s_waitcnt vmcnt(6)
	v_mov_b32_e32 v25, v13
	s_waitcnt vmcnt(5)
	v_mov_b32_e32 v22, v14
	s_waitcnt vmcnt(4)
	v_mov_b32_e32 v23, v15
	s_waitcnt vmcnt(3)
	v_mov_b32_e32 v20, v10
	s_waitcnt vmcnt(2)
	v_mov_b32_e32 v21, v11
	s_waitcnt vmcnt(1)
	v_mov_b32_e32 v18, v34
	s_waitcnt vmcnt(0)
	v_mov_b32_e32 v19, v35
.LBB9_7:
	s_waitcnt vmcnt(16)
	v_lshrrev_b16_e32 v0, 8, v36
	s_cmp_gt_i32 s45, 0
	v_readfirstlane_b32 s22, v0
	s_cbranch_scc1 .LBB9_9
; %bb.8:
	s_mov_b32 s0, 0
	s_bitcmp1_b32 s22, 0
	s_mov_b32 s1, s0
	s_mov_b32 s2, s0
	;; [unrolled: 1-line block ×15, first 2 shown]
	s_mov_b64 s[20:21], 0
	s_cselect_b64 s[18:19], -1, 0
	s_branch .LBB9_10
.LBB9_9:
	s_mov_b64 s[20:21], -1
                                        ; implicit-def: $sgpr0
                                        ; implicit-def: $sgpr18_sgpr19
.LBB9_10:
	v_pk_mov_b32 v[0:1], s[0:1], s[0:1] op_sel:[0,1]
	v_add_u32_e32 v83, 32, v68
	v_add_u32_e32 v82, 64, v68
	;; [unrolled: 1-line block ×15, first 2 shown]
	s_andn2_b64 vcc, exec, s[20:21]
	v_mov_b32_e32 v85, s0
	v_pk_mov_b32 v[2:3], s[2:3], s[2:3] op_sel:[0,1]
	v_pk_mov_b32 v[4:5], s[4:5], s[4:5] op_sel:[0,1]
	;; [unrolled: 1-line block ×7, first 2 shown]
	v_mbcnt_lo_u32_b32 v84, -1, 0
	s_cbranch_vccnz .LBB9_29
; %bb.11:
	global_load_dword v0, v66, s[42:43] offset:1024
	global_load_dword v1, v66, s[42:43] offset:1152
	;; [unrolled: 1-line block ×13, first 2 shown]
	global_load_dword v14, v66, s[42:43]
	global_load_dword v10, v66, s[42:43] offset:256
	global_load_dword v15, v66, s[42:43] offset:128
	v_mov_b32_e32 v47, 0xff7fffff
	s_waitcnt vmcnt(31)
	v_cmp_o_f32_e32 vcc, v32, v32
	v_cndmask_b32_e32 v32, v47, v32, vcc
	s_waitcnt vmcnt(30)
	v_cmp_o_f32_e32 vcc, v33, v33
	v_cndmask_b32_e32 v33, v47, v33, vcc
	;; [unrolled: 3-line block ×14, first 2 shown]
	s_waitcnt vmcnt(17)
	v_cmp_o_f32_e32 vcc, v18, v18
	v_mbcnt_hi_u32_b32 v85, -1, v84
	v_cndmask_b32_e32 v46, v47, v18, vcc
	s_waitcnt vmcnt(16)
	v_cmp_o_f32_e32 vcc, v19, v19
	v_mov_b32_e32 v49, s41
	v_cndmask_b32_e32 v47, v47, v19, vcc
	v_add_co_u32_e32 v48, vcc, s40, v16
	v_and_b32_e32 v16, 0x60, v85
	v_addc_co_u32_e32 v49, vcc, v49, v17, vcc
	v_xor_b32_e32 v17, 16, v85
	v_add_u32_e32 v16, 32, v16
	v_xor_b32_e32 v18, 8, v85
	v_cmp_lt_i32_e32 vcc, v17, v16
	v_xor_b32_e32 v19, 4, v85
	v_cndmask_b32_e32 v17, v85, v17, vcc
	v_cmp_lt_i32_e32 vcc, v18, v16
	v_xor_b32_e32 v20, 2, v85
	v_cndmask_b32_e32 v18, v85, v18, vcc
	v_cmp_lt_i32_e32 vcc, v19, v16
	v_cndmask_b32_e32 v19, v85, v19, vcc
	v_cmp_lt_i32_e32 vcc, v20, v16
	s_bitcmp1_b32 s22, 0
	s_mov_b32 s6, 0
	s_cselect_b64 s[18:19], -1, 0
	v_lshlrev_b32_e32 v86, 2, v17
	v_lshlrev_b32_e32 v87, 2, v18
	;; [unrolled: 1-line block ×3, first 2 shown]
	v_mov_b32_e32 v91, 0xff800000
	s_waitcnt vmcnt(14)
	v_pk_add_f32 v[56:57], v[40:41], v[0:1]
	v_cndmask_b32_e32 v0, v85, v20, vcc
	v_lshlrev_b32_e32 v89, 2, v0
	v_xor_b32_e32 v0, 1, v85
	v_cmp_lt_i32_e32 vcc, v0, v16
	v_cndmask_b32_e32 v0, v85, v0, vcc
	v_mov_b32_e32 v85, 0
	s_waitcnt vmcnt(8)
	v_pk_add_f32 v[50:51], v[46:47], v[6:7]
	v_pk_add_f32 v[52:53], v[44:45], v[4:5]
	;; [unrolled: 1-line block ×3, first 2 shown]
	s_waitcnt vmcnt(4)
	v_pk_add_f32 v[58:59], v[38:39], v[8:9]
	s_waitcnt vmcnt(3)
	v_pk_add_f32 v[60:61], v[36:37], v[12:13]
	v_lshlrev_b32_e32 v90, 2, v0
	s_waitcnt vmcnt(1)
	v_pk_add_f32 v[62:63], v[34:35], v[10:11]
	s_waitcnt vmcnt(0)
	v_pk_add_f32 v[64:65], v[32:33], v[14:15]
	v_mov_b32_e32 v0, 0
	v_mov_b32_e32 v1, v85
	;; [unrolled: 1-line block ×16, first 2 shown]
	s_branch .LBB9_13
.LBB9_12:                               ;   in Loop: Header=BB9_13 Depth=1
	s_or_b64 exec, exec, s[2:3]
	s_and_b32 s0, s6, 31
	v_pk_mov_b32 v[30:31], v[14:15], v[14:15] op_sel:[0,1]
	s_lshr_b32 s1, s6, 5
	v_pk_mov_b32 v[28:29], v[12:13], v[12:13] op_sel:[0,1]
	v_pk_mov_b32 v[26:27], v[10:11], v[10:11] op_sel:[0,1]
	;; [unrolled: 1-line block ×7, first 2 shown]
	v_cmp_eq_u32_e32 vcc, s0, v68
	s_set_gpr_idx_on s1, gpr_idx(DST)
	v_mov_b32_e32 v16, v92
	s_set_gpr_idx_off
	v_cndmask_b32_e32 v15, v15, v31, vcc
	v_cndmask_b32_e32 v14, v14, v30, vcc
	;; [unrolled: 1-line block ×16, first 2 shown]
	s_add_i32 s6, s6, 1
	v_add_co_u32_e32 v48, vcc, 4, v48
	s_cmp_eq_u32 s45, s6
	v_addc_co_u32_e32 v49, vcc, 0, v49, vcc
	s_cbranch_scc1 .LBB9_29
.LBB9_13:                               ; =>This Inner Loop Header: Depth=1
	v_cmp_gt_f32_e32 vcc, v65, v64
	v_cndmask_b32_e32 v18, v64, v65, vcc
	v_cndmask_b32_e32 v16, v32, v33, vcc
	v_cndmask_b32_e32 v17, v68, v83, vcc
	v_cmp_gt_f32_e32 vcc, v62, v18
	v_cndmask_b32_e32 v18, v18, v62, vcc
	v_cndmask_b32_e32 v16, v16, v34, vcc
	v_cndmask_b32_e32 v17, v17, v82, vcc
	;; [unrolled: 4-line block ×14, first 2 shown]
	v_cmp_gt_f32_e32 vcc, v51, v18
	v_cndmask_b32_e32 v18, v18, v51, vcc
	v_cndmask_b32_e32 v17, v17, v69, vcc
	ds_bpermute_b32 v19, v86, v18
	ds_bpermute_b32 v20, v86, v17
	v_cndmask_b32_e32 v16, v16, v47, vcc
	ds_bpermute_b32 v22, v86, v16
	s_waitcnt lgkmcnt(2)
	v_cmp_eq_f32_e64 s[0:1], v18, v19
	s_waitcnt lgkmcnt(1)
	v_cmp_lt_i32_e64 s[2:3], v20, v17
	v_cmp_lt_f32_e32 vcc, v18, v19
	s_and_b64 s[0:1], s[0:1], s[2:3]
	s_or_b64 vcc, vcc, s[0:1]
	v_cndmask_b32_e32 v19, v18, v19, vcc
	v_cndmask_b32_e32 v21, v17, v20, vcc
	s_waitcnt lgkmcnt(0)
	v_cndmask_b32_e32 v18, v16, v22, vcc
	ds_bpermute_b32 v23, v87, v19
	ds_bpermute_b32 v20, v87, v18
	;; [unrolled: 1-line block ×3, first 2 shown]
                                        ; implicit-def: $vgpr16_vgpr17
	s_waitcnt lgkmcnt(2)
	v_cmp_lt_f32_e64 s[2:3], v19, v23
	v_cmp_nlt_f32_e32 vcc, v19, v23
	s_and_saveexec_b64 s[4:5], vcc
	s_cbranch_execz .LBB9_15
; %bb.14:                               ;   in Loop: Header=BB9_13 Depth=1
	v_cmp_eq_f32_e32 vcc, v19, v23
	s_waitcnt lgkmcnt(0)
	v_cmp_lt_i32_e64 s[0:1], v22, v21
	s_and_b64 s[0:1], vcc, s[0:1]
	s_andn2_b64 s[2:3], s[2:3], exec
	s_and_b64 s[0:1], s[0:1], exec
	s_or_b64 s[2:3], s[2:3], s[0:1]
	v_pk_mov_b32 v[16:17], v[18:19], v[18:19] op_sel:[0,1]
.LBB9_15:                               ;   in Loop: Header=BB9_13 Depth=1
	s_or_b64 exec, exec, s[4:5]
	s_and_saveexec_b64 s[0:1], s[2:3]
	s_cbranch_execz .LBB9_17
; %bb.16:                               ;   in Loop: Header=BB9_13 Depth=1
	s_waitcnt lgkmcnt(0)
	v_mov_b32_e32 v21, v22
	v_mov_b32_e32 v19, v23
	;; [unrolled: 1-line block ×3, first 2 shown]
	v_pk_mov_b32 v[16:17], v[20:21], v[20:21] op_sel:[0,1]
.LBB9_17:                               ;   in Loop: Header=BB9_13 Depth=1
	s_or_b64 exec, exec, s[0:1]
	s_waitcnt lgkmcnt(0)
	ds_bpermute_b32 v22, v88, v19
	ds_bpermute_b32 v20, v88, v18
	;; [unrolled: 1-line block ×3, first 2 shown]
	s_waitcnt lgkmcnt(2)
	v_cmp_lt_f32_e64 s[2:3], v19, v22
	v_cmp_nlt_f32_e32 vcc, v19, v22
	s_and_saveexec_b64 s[4:5], vcc
	s_cbranch_execz .LBB9_19
; %bb.18:                               ;   in Loop: Header=BB9_13 Depth=1
	v_cmp_eq_f32_e32 vcc, v19, v22
	s_waitcnt lgkmcnt(0)
	v_cmp_lt_i32_e64 s[0:1], v17, v21
	s_and_b64 s[0:1], vcc, s[0:1]
	s_andn2_b64 s[2:3], s[2:3], exec
	s_and_b64 s[0:1], s[0:1], exec
	s_or_b64 s[2:3], s[2:3], s[0:1]
.LBB9_19:                               ;   in Loop: Header=BB9_13 Depth=1
	s_or_b64 exec, exec, s[4:5]
	s_and_saveexec_b64 s[0:1], s[2:3]
	s_cbranch_execz .LBB9_21
; %bb.20:                               ;   in Loop: Header=BB9_13 Depth=1
	s_waitcnt lgkmcnt(0)
	v_mov_b32_e32 v21, v17
	v_mov_b32_e32 v19, v22
	;; [unrolled: 1-line block ×3, first 2 shown]
	v_pk_mov_b32 v[16:17], v[20:21], v[20:21] op_sel:[0,1]
.LBB9_21:                               ;   in Loop: Header=BB9_13 Depth=1
	s_or_b64 exec, exec, s[0:1]
	ds_bpermute_b32 v22, v89, v19
	s_waitcnt lgkmcnt(2)
	ds_bpermute_b32 v20, v89, v18
	s_waitcnt lgkmcnt(2)
	;; [unrolled: 2-line block ×3, first 2 shown]
	v_cmp_lt_f32_e64 s[2:3], v19, v22
	v_cmp_nlt_f32_e32 vcc, v19, v22
	s_and_saveexec_b64 s[4:5], vcc
	s_cbranch_execz .LBB9_23
; %bb.22:                               ;   in Loop: Header=BB9_13 Depth=1
	v_cmp_eq_f32_e32 vcc, v19, v22
	s_waitcnt lgkmcnt(0)
	v_cmp_lt_i32_e64 s[0:1], v17, v21
	s_and_b64 s[0:1], vcc, s[0:1]
	s_andn2_b64 s[2:3], s[2:3], exec
	s_and_b64 s[0:1], s[0:1], exec
	s_or_b64 s[2:3], s[2:3], s[0:1]
.LBB9_23:                               ;   in Loop: Header=BB9_13 Depth=1
	s_or_b64 exec, exec, s[4:5]
	s_and_saveexec_b64 s[0:1], s[2:3]
	s_cbranch_execz .LBB9_25
; %bb.24:                               ;   in Loop: Header=BB9_13 Depth=1
	s_waitcnt lgkmcnt(0)
	v_mov_b32_e32 v21, v17
	v_mov_b32_e32 v19, v22
	;; [unrolled: 1-line block ×3, first 2 shown]
	v_pk_mov_b32 v[16:17], v[20:21], v[20:21] op_sel:[0,1]
.LBB9_25:                               ;   in Loop: Header=BB9_13 Depth=1
	s_or_b64 exec, exec, s[0:1]
	s_waitcnt lgkmcnt(0)
	ds_bpermute_b32 v17, v90, v19
	ds_bpermute_b32 v20, v90, v21
	;; [unrolled: 1-line block ×3, first 2 shown]
	s_waitcnt lgkmcnt(2)
	v_cmp_eq_f32_e64 s[0:1], v19, v17
	s_waitcnt lgkmcnt(1)
	v_cmp_lt_i32_e64 s[2:3], v20, v21
	v_cmp_lt_f32_e32 vcc, v19, v17
	s_and_b64 s[0:1], s[0:1], s[2:3]
	s_or_b64 vcc, vcc, s[0:1]
	v_cndmask_b32_e32 v17, v21, v20, vcc
	v_and_b32_e32 v19, 31, v17
	v_cmp_eq_u32_e64 s[0:1], v19, v68
	s_and_saveexec_b64 s[4:5], s[0:1]
	s_cbranch_execz .LBB9_27
; %bb.26:                               ;   in Loop: Header=BB9_13 Depth=1
	v_ashrrev_i32_e32 v19, 31, v17
	v_lshrrev_b32_e32 v19, 27, v19
	v_add_u32_e32 v19, v17, v19
	v_ashrrev_i32_e32 v19, 5, v19
	v_cmp_ne_u32_e64 s[2:3], 15, v19
	v_cndmask_b32_e64 v51, v91, v51, s[2:3]
	v_cmp_ne_u32_e64 s[2:3], 14, v19
	v_cndmask_b32_e64 v50, v91, v50, s[2:3]
	;; [unrolled: 2-line block ×16, first 2 shown]
.LBB9_27:                               ;   in Loop: Header=BB9_13 Depth=1
	s_or_b64 exec, exec, s[4:5]
	s_waitcnt lgkmcnt(0)
	v_cndmask_b32_e32 v92, v16, v18, vcc
	s_and_saveexec_b64 s[2:3], s[0:1]
	s_cbranch_execz .LBB9_12
; %bb.28:                               ;   in Loop: Header=BB9_13 Depth=1
	v_add_f32_e32 v16, v85, v92
	v_cndmask_b32_e64 v85, v85, v16, s[18:19]
	global_store_dword v[48:49], v17, off
	s_branch .LBB9_12
.LBB9_29:
	s_and_b64 vcc, exec, s[18:19]
	s_cbranch_vccz .LBB9_31
; %bb.30:
	v_mbcnt_hi_u32_b32 v16, -1, v84
	v_and_b32_e32 v17, 0x60, v16
	v_add_u32_e32 v17, 32, v17
	s_waitcnt vmcnt(1)
	v_xor_b32_e32 v18, 16, v16
	v_cmp_lt_i32_e32 vcc, v18, v17
	v_cndmask_b32_e32 v18, v16, v18, vcc
	v_lshlrev_b32_e32 v18, 2, v18
	ds_bpermute_b32 v18, v18, v85
	s_waitcnt vmcnt(0)
	v_xor_b32_e32 v19, 8, v16
	v_cmp_lt_i32_e32 vcc, v19, v17
	v_cndmask_b32_e32 v19, v16, v19, vcc
	v_lshlrev_b32_e32 v19, 2, v19
	s_waitcnt lgkmcnt(0)
	v_add_f32_e32 v18, v85, v18
	ds_bpermute_b32 v19, v19, v18
	v_xor_b32_e32 v20, 4, v16
	v_cmp_lt_i32_e32 vcc, v20, v17
	s_waitcnt lgkmcnt(0)
	v_add_f32_e32 v18, v18, v19
	v_cndmask_b32_e32 v19, v16, v20, vcc
	v_lshlrev_b32_e32 v19, 2, v19
	ds_bpermute_b32 v19, v19, v18
	v_xor_b32_e32 v20, 2, v16
	v_cmp_lt_i32_e32 vcc, v20, v17
	s_waitcnt lgkmcnt(0)
	v_add_f32_e32 v18, v18, v19
	v_cndmask_b32_e32 v19, v16, v20, vcc
	v_lshlrev_b32_e32 v19, 2, v19
	ds_bpermute_b32 v19, v19, v18
	v_xor_b32_e32 v20, 1, v16
	v_cmp_lt_i32_e32 vcc, v20, v17
	v_cndmask_b32_e32 v16, v16, v20, vcc
	v_lshlrev_b32_e32 v16, 2, v16
	s_waitcnt lgkmcnt(0)
	v_add_f32_e32 v18, v18, v19
	ds_bpermute_b32 v16, v16, v18
	v_max_f32_e64 v17, s46, s46
	s_waitcnt lgkmcnt(0)
	v_add_f32_e32 v16, v18, v16
	v_max_f32_e32 v16, v16, v17
	v_div_scale_f32 v17, s[0:1], v16, v16, 1.0
	v_rcp_f32_e32 v18, v17
	v_div_scale_f32 v19, vcc, 1.0, v16, 1.0
	v_fma_f32 v20, -v17, v18, 1.0
	v_fmac_f32_e32 v18, v20, v18
	v_mul_f32_e32 v20, v19, v18
	v_fma_f32 v21, -v17, v20, v19
	v_fmac_f32_e32 v20, v21, v18
	v_fma_f32 v17, -v17, v20, v19
	v_div_fmas_f32 v17, v17, v18, v20
	v_div_fixup_f32 v16, v17, v16, 1.0
	v_pk_mul_f32 v[14:15], v[16:17], v[14:15] op_sel_hi:[0,1]
	v_pk_mul_f32 v[12:13], v[16:17], v[12:13] op_sel_hi:[0,1]
	;; [unrolled: 1-line block ×8, first 2 shown]
.LBB9_31:
	s_andn2_b64 vcc, exec, s[16:17]
	v_cmp_gt_i32_e64 s[28:29], s45, v83
	v_cmp_gt_i32_e64 s[26:27], s45, v82
	;; [unrolled: 1-line block ×16, first 2 shown]
	s_cbranch_vccnz .LBB9_33
; %bb.32:
	v_max_f32_e32 v16, v0, v0
	v_max_f32_e32 v16, 0xff800000, v16
	v_mov_b32_e32 v17, 0xff800000
	v_cndmask_b32_e64 v16, v17, v16, s[30:31]
	v_max_f32_e32 v17, v1, v1
	v_max_f32_e32 v17, v16, v17
	v_cndmask_b32_e64 v16, v16, v17, s[28:29]
	v_max_f32_e32 v17, v2, v2
	v_max_f32_e32 v17, v16, v17
	;; [unrolled: 3-line block ×4, first 2 shown]
	v_cndmask_b32_e64 v16, v16, v17, s[22:23]
	v_max_f32_e32 v17, v16, v16
	s_waitcnt vmcnt(1)
	v_max_f32_e32 v18, v5, v5
	v_max_f32_e32 v17, v17, v18
	v_cndmask_b32_e64 v16, v16, v17, s[20:21]
	v_max_f32_e32 v17, v16, v16
	v_max_f32_e32 v18, v6, v6
	v_max_f32_e32 v17, v17, v18
	v_cndmask_b32_e64 v16, v16, v17, s[18:19]
	v_max_f32_e32 v17, v16, v16
	;; [unrolled: 4-line block ×10, first 2 shown]
	v_max_f32_e32 v18, v15, v15
	v_max_f32_e32 v17, v17, v18
	v_cndmask_b32_e64 v16, v16, v17, s[0:1]
	v_mbcnt_hi_u32_b32 v17, -1, v84
	v_and_b32_e32 v18, 0x60, v17
	v_add_u32_e32 v18, 32, v18
	s_waitcnt vmcnt(0)
	v_xor_b32_e32 v19, 16, v17
	v_cmp_lt_i32_e32 vcc, v19, v18
	v_cndmask_b32_e32 v19, v17, v19, vcc
	v_lshlrev_b32_e32 v19, 2, v19
	ds_bpermute_b32 v20, v19, v16
	v_max_f32_e32 v16, v16, v16
	s_mov_b32 s35, 0x3fb8aa3b
	s_mov_b32 s33, 0xc2ce8ed0
	;; [unrolled: 1-line block ×3, first 2 shown]
	s_waitcnt lgkmcnt(0)
	v_max_f32_e32 v20, v20, v20
	v_max_f32_e32 v16, v16, v20
	v_xor_b32_e32 v20, 8, v17
	v_cmp_lt_i32_e32 vcc, v20, v18
	v_cndmask_b32_e32 v20, v17, v20, vcc
	v_lshlrev_b32_e32 v20, 2, v20
	ds_bpermute_b32 v21, v20, v16
	s_waitcnt lgkmcnt(0)
	v_max_f32_e32 v21, v21, v21
	v_max_f32_e32 v16, v16, v21
	v_xor_b32_e32 v21, 4, v17
	v_cmp_lt_i32_e32 vcc, v21, v18
	v_cndmask_b32_e32 v21, v17, v21, vcc
	v_lshlrev_b32_e32 v21, 2, v21
	ds_bpermute_b32 v22, v21, v16
	;; [unrolled: 8-line block ×4, first 2 shown]
	s_waitcnt lgkmcnt(0)
	v_max_f32_e32 v18, v18, v18
	v_max_f32_e32 v16, v16, v18
	v_sub_f32_e32 v0, v0, v16
	v_mul_f32_e32 v18, 0x3fb8aa3b, v0
	v_fma_f32 v23, v0, s35, -v18
	v_rndne_f32_e32 v24, v18
	v_fmac_f32_e32 v23, 0x32a5705f, v0
	v_sub_f32_e32 v18, v18, v24
	v_sub_f32_e32 v1, v1, v16
	v_add_f32_e32 v18, v18, v23
	v_cvt_i32_f32_e32 v23, v24
	v_mul_f32_e32 v24, 0x3fb8aa3b, v1
	v_fma_f32 v25, v1, s35, -v24
	v_rndne_f32_e32 v26, v24
	v_exp_f32_e32 v18, v18
	v_fmac_f32_e32 v25, 0x32a5705f, v1
	v_sub_f32_e32 v24, v24, v26
	v_add_f32_e32 v24, v24, v25
	v_exp_f32_e32 v24, v24
	v_cvt_i32_f32_e32 v25, v26
	v_ldexp_f32 v18, v18, v23
	v_cmp_ngt_f32_e32 vcc, s33, v0
	v_cndmask_b32_e32 v18, 0, v18, vcc
	v_mov_b32_e32 v23, 0x7f800000
	v_cmp_nlt_f32_e32 vcc, s34, v0
	v_sub_f32_e32 v2, v2, v16
	v_cndmask_b32_e32 v0, v23, v18, vcc
	v_ldexp_f32 v18, v24, v25
	v_mul_f32_e32 v24, 0x3fb8aa3b, v2
	v_fma_f32 v25, v2, s35, -v24
	v_rndne_f32_e32 v26, v24
	v_fmac_f32_e32 v25, 0x32a5705f, v2
	v_sub_f32_e32 v24, v24, v26
	v_add_f32_e32 v24, v24, v25
	v_exp_f32_e32 v24, v24
	v_cvt_i32_f32_e32 v25, v26
	v_sub_f32_e32 v3, v3, v16
	v_cmp_ngt_f32_e32 vcc, s33, v1
	v_cndmask_b32_e32 v18, 0, v18, vcc
	v_ldexp_f32 v24, v24, v25
	v_mul_f32_e32 v25, 0x3fb8aa3b, v3
	v_fma_f32 v26, v3, s35, -v25
	v_rndne_f32_e32 v27, v25
	v_fmac_f32_e32 v26, 0x32a5705f, v3
	v_sub_f32_e32 v25, v25, v27
	v_cmp_nlt_f32_e32 vcc, s34, v1
	v_add_f32_e32 v25, v25, v26
	v_cndmask_b32_e64 v0, 0, v0, s[30:31]
	v_cndmask_b32_e32 v1, v23, v18, vcc
	v_cmp_ngt_f32_e32 vcc, s33, v2
	v_exp_f32_e32 v25, v25
	v_cvt_i32_f32_e32 v26, v27
	v_add_f32_e32 v18, v1, v0
	v_cndmask_b32_e32 v24, 0, v24, vcc
	v_cmp_nlt_f32_e32 vcc, s34, v2
	v_cndmask_b32_e64 v18, v0, v18, s[28:29]
	v_cndmask_b32_e32 v2, v23, v24, vcc
	v_add_f32_e32 v24, v18, v2
	v_sub_f32_e32 v4, v4, v16
	v_cndmask_b32_e64 v18, v18, v24, s[26:27]
	v_ldexp_f32 v24, v25, v26
	v_mul_f32_e32 v25, 0x3fb8aa3b, v4
	v_fma_f32 v26, v4, s35, -v25
	v_rndne_f32_e32 v27, v25
	v_fmac_f32_e32 v26, 0x32a5705f, v4
	v_sub_f32_e32 v25, v25, v27
	v_add_f32_e32 v25, v25, v26
	v_cmp_ngt_f32_e32 vcc, s33, v3
	v_exp_f32_e32 v25, v25
	v_cvt_i32_f32_e32 v26, v27
	v_cndmask_b32_e32 v24, 0, v24, vcc
	v_cmp_nlt_f32_e32 vcc, s34, v3
	v_cndmask_b32_e32 v3, v23, v24, vcc
	v_add_f32_e32 v24, v18, v3
	v_sub_f32_e32 v5, v5, v16
	v_cndmask_b32_e64 v18, v18, v24, s[24:25]
	v_ldexp_f32 v24, v25, v26
	v_mul_f32_e32 v25, 0x3fb8aa3b, v5
	v_fma_f32 v26, v5, s35, -v25
	v_rndne_f32_e32 v27, v25
	v_fmac_f32_e32 v26, 0x32a5705f, v5
	v_sub_f32_e32 v25, v25, v27
	v_add_f32_e32 v25, v25, v26
	v_cmp_ngt_f32_e32 vcc, s33, v4
	v_exp_f32_e32 v25, v25
	v_cvt_i32_f32_e32 v26, v27
	v_cndmask_b32_e32 v24, 0, v24, vcc
	v_cmp_nlt_f32_e32 vcc, s34, v4
	;; [unrolled: 16-line block ×11, first 2 shown]
	v_cndmask_b32_e32 v13, v23, v24, vcc
	v_sub_f32_e32 v15, v15, v16
	v_add_f32_e32 v24, v18, v13
	v_mul_f32_e32 v16, 0x3fb8aa3b, v15
	v_cndmask_b32_e64 v18, v18, v24, s[4:5]
	v_ldexp_f32 v24, v25, v26
	v_fma_f32 v25, v15, s35, -v16
	v_rndne_f32_e32 v26, v16
	v_fmac_f32_e32 v25, 0x32a5705f, v15
	v_sub_f32_e32 v16, v16, v26
	v_add_f32_e32 v16, v16, v25
	v_exp_f32_e32 v16, v16
	v_cvt_i32_f32_e32 v25, v26
	v_cmp_ngt_f32_e32 vcc, s33, v14
	v_cndmask_b32_e32 v24, 0, v24, vcc
	v_cmp_nlt_f32_e32 vcc, s34, v14
	v_cndmask_b32_e32 v14, v23, v24, vcc
	v_ldexp_f32 v16, v16, v25
	v_cmp_ngt_f32_e32 vcc, s33, v15
	v_add_f32_e32 v24, v18, v14
	v_cndmask_b32_e32 v16, 0, v16, vcc
	v_cmp_nlt_f32_e32 vcc, s34, v15
	v_cndmask_b32_e64 v18, v18, v24, s[2:3]
	v_cndmask_b32_e32 v15, v23, v16, vcc
	v_add_f32_e32 v16, v18, v15
	v_cndmask_b32_e64 v16, v18, v16, s[0:1]
	ds_bpermute_b32 v18, v19, v16
	v_cndmask_b32_e64 v1, 0, v1, s[28:29]
	v_cndmask_b32_e64 v2, 0, v2, s[26:27]
	v_cndmask_b32_e64 v3, 0, v3, s[24:25]
	v_cndmask_b32_e64 v4, 0, v4, s[22:23]
	s_waitcnt lgkmcnt(0)
	v_add_f32_e32 v16, v16, v18
	ds_bpermute_b32 v18, v20, v16
	v_cndmask_b32_e64 v5, 0, v5, s[20:21]
	v_cndmask_b32_e64 v6, 0, v6, s[18:19]
	v_cndmask_b32_e64 v7, 0, v7, s[16:17]
	v_cndmask_b32_e64 v8, 0, v8, s[14:15]
	s_waitcnt lgkmcnt(0)
	v_add_f32_e32 v16, v16, v18
	;; [unrolled: 7-line block ×3, first 2 shown]
	ds_bpermute_b32 v18, v22, v16
	v_cndmask_b32_e64 v13, 0, v13, s[4:5]
	v_cndmask_b32_e64 v14, 0, v14, s[2:3]
	;; [unrolled: 1-line block ×3, first 2 shown]
	s_waitcnt lgkmcnt(0)
	v_add_f32_e32 v16, v16, v18
	ds_bpermute_b32 v17, v17, v16
	s_waitcnt lgkmcnt(0)
	v_add_f32_e32 v16, v16, v17
	v_div_scale_f32 v17, s[34:35], v16, v16, 1.0
	v_rcp_f32_e32 v18, v17
	v_fma_f32 v19, -v17, v18, 1.0
	v_fmac_f32_e32 v18, v19, v18
	v_div_scale_f32 v19, vcc, 1.0, v16, 1.0
	v_mul_f32_e32 v20, v19, v18
	v_fma_f32 v21, -v17, v20, v19
	v_fmac_f32_e32 v20, v21, v18
	v_fma_f32 v17, -v17, v20, v19
	v_div_fmas_f32 v17, v17, v18, v20
	v_div_fixup_f32 v16, v17, v16, 1.0
	v_mul_f32_e32 v17, v0, v16
	v_cndmask_b32_e64 v0, v0, v17, s[30:31]
	v_mul_f32_e32 v17, v1, v16
	v_cndmask_b32_e64 v1, v1, v17, s[28:29]
	;; [unrolled: 2-line block ×14, first 2 shown]
	v_mul_f32_e32 v17, v14, v16
	v_mul_f32_e32 v16, v15, v16
	v_cndmask_b32_e64 v14, v14, v17, s[2:3]
	v_cndmask_b32_e64 v15, v15, v16, s[0:1]
.LBB9_33:
	v_mul_lo_u32 v16, v67, s45
	v_ashrrev_i32_e32 v17, 31, v16
	v_lshlrev_b64 v[16:17], 2, v[16:17]
	s_waitcnt vmcnt(1)
	v_mov_b32_e32 v18, s39
	v_add_co_u32_e32 v16, vcc, s38, v16
	v_addc_co_u32_e32 v17, vcc, v18, v17, vcc
	v_cmp_gt_i32_e32 vcc, s45, v68
	s_and_saveexec_b64 s[0:1], vcc
	s_cbranch_execnz .LBB9_51
; %bb.34:
	s_or_b64 exec, exec, s[0:1]
	v_cmp_gt_i32_e32 vcc, s45, v83
	s_and_saveexec_b64 s[0:1], vcc
	s_cbranch_execnz .LBB9_52
.LBB9_35:
	s_or_b64 exec, exec, s[0:1]
	v_cmp_gt_i32_e32 vcc, s45, v82
	s_and_saveexec_b64 s[0:1], vcc
	s_cbranch_execnz .LBB9_53
.LBB9_36:
	s_or_b64 exec, exec, s[0:1]
	v_cmp_gt_i32_e32 vcc, s45, v81
	s_and_saveexec_b64 s[0:1], vcc
	s_cbranch_execnz .LBB9_54
.LBB9_37:
	s_or_b64 exec, exec, s[0:1]
	v_cmp_gt_i32_e32 vcc, s45, v80
	s_and_saveexec_b64 s[0:1], vcc
	s_cbranch_execnz .LBB9_55
.LBB9_38:
	s_or_b64 exec, exec, s[0:1]
	v_cmp_gt_i32_e32 vcc, s45, v79
	s_and_saveexec_b64 s[0:1], vcc
	s_cbranch_execnz .LBB9_56
.LBB9_39:
	s_or_b64 exec, exec, s[0:1]
	v_cmp_gt_i32_e32 vcc, s45, v78
	s_and_saveexec_b64 s[0:1], vcc
	s_cbranch_execnz .LBB9_57
.LBB9_40:
	s_or_b64 exec, exec, s[0:1]
	v_cmp_gt_i32_e32 vcc, s45, v77
	s_and_saveexec_b64 s[0:1], vcc
	s_cbranch_execnz .LBB9_58
.LBB9_41:
	s_or_b64 exec, exec, s[0:1]
	v_cmp_gt_i32_e32 vcc, s45, v76
	s_and_saveexec_b64 s[0:1], vcc
	s_cbranch_execnz .LBB9_59
.LBB9_42:
	s_or_b64 exec, exec, s[0:1]
	v_cmp_gt_i32_e32 vcc, s45, v75
	s_and_saveexec_b64 s[0:1], vcc
	s_cbranch_execnz .LBB9_60
.LBB9_43:
	s_or_b64 exec, exec, s[0:1]
	v_cmp_gt_i32_e32 vcc, s45, v74
	s_and_saveexec_b64 s[0:1], vcc
	s_cbranch_execnz .LBB9_61
.LBB9_44:
	s_or_b64 exec, exec, s[0:1]
	v_cmp_gt_i32_e32 vcc, s45, v73
	s_and_saveexec_b64 s[0:1], vcc
	s_cbranch_execnz .LBB9_62
.LBB9_45:
	s_or_b64 exec, exec, s[0:1]
	v_cmp_gt_i32_e32 vcc, s45, v72
	s_and_saveexec_b64 s[0:1], vcc
	s_cbranch_execnz .LBB9_63
.LBB9_46:
	s_or_b64 exec, exec, s[0:1]
	v_cmp_gt_i32_e32 vcc, s45, v71
	s_and_saveexec_b64 s[0:1], vcc
	s_cbranch_execnz .LBB9_64
.LBB9_47:
	s_or_b64 exec, exec, s[0:1]
	v_cmp_gt_i32_e32 vcc, s45, v70
	s_and_saveexec_b64 s[0:1], vcc
	s_cbranch_execnz .LBB9_65
.LBB9_48:
	s_or_b64 exec, exec, s[0:1]
	v_cmp_gt_i32_e32 vcc, s45, v69
	s_and_b64 exec, exec, vcc
	s_cbranch_execz .LBB9_50
.LBB9_49:
	v_add_co_u32_e32 v0, vcc, v16, v66
	v_addc_co_u32_e32 v1, vcc, 0, v17, vcc
	v_mul_f32_e32 v2, s47, v15
	global_store_dword v[0:1], v2, off offset:1920
.LBB9_50:
	s_endpgm
.LBB9_51:
	v_add_co_u32_e32 v18, vcc, v16, v66
	s_waitcnt vmcnt(0)
	v_addc_co_u32_e32 v19, vcc, 0, v17, vcc
	v_mul_f32_e32 v0, s47, v0
	global_store_dword v[18:19], v0, off
	s_or_b64 exec, exec, s[0:1]
	v_cmp_gt_i32_e32 vcc, s45, v83
	s_and_saveexec_b64 s[0:1], vcc
	s_cbranch_execz .LBB9_35
.LBB9_52:
	v_add_co_u32_e32 v18, vcc, v16, v66
	s_waitcnt vmcnt(0)
	v_addc_co_u32_e32 v19, vcc, 0, v17, vcc
	v_mul_f32_e32 v0, s47, v1
	global_store_dword v[18:19], v0, off offset:128
	s_or_b64 exec, exec, s[0:1]
	v_cmp_gt_i32_e32 vcc, s45, v82
	s_and_saveexec_b64 s[0:1], vcc
	s_cbranch_execz .LBB9_36
.LBB9_53:
	v_add_co_u32_e32 v0, vcc, v16, v66
	v_addc_co_u32_e32 v1, vcc, 0, v17, vcc
	v_mul_f32_e32 v2, s47, v2
	global_store_dword v[0:1], v2, off offset:256
	s_or_b64 exec, exec, s[0:1]
	v_cmp_gt_i32_e32 vcc, s45, v81
	s_and_saveexec_b64 s[0:1], vcc
	s_cbranch_execz .LBB9_37
.LBB9_54:
	v_add_co_u32_e32 v0, vcc, v16, v66
	v_addc_co_u32_e32 v1, vcc, 0, v17, vcc
	v_mul_f32_e32 v2, s47, v3
	global_store_dword v[0:1], v2, off offset:384
	s_or_b64 exec, exec, s[0:1]
	v_cmp_gt_i32_e32 vcc, s45, v80
	s_and_saveexec_b64 s[0:1], vcc
	s_cbranch_execz .LBB9_38
.LBB9_55:
	v_add_co_u32_e32 v0, vcc, v16, v66
	v_addc_co_u32_e32 v1, vcc, 0, v17, vcc
	v_mul_f32_e32 v2, s47, v4
	global_store_dword v[0:1], v2, off offset:512
	s_or_b64 exec, exec, s[0:1]
	v_cmp_gt_i32_e32 vcc, s45, v79
	s_and_saveexec_b64 s[0:1], vcc
	s_cbranch_execz .LBB9_39
.LBB9_56:
	v_add_co_u32_e32 v0, vcc, v16, v66
	v_addc_co_u32_e32 v1, vcc, 0, v17, vcc
	v_mul_f32_e32 v2, s47, v5
	global_store_dword v[0:1], v2, off offset:640
	s_or_b64 exec, exec, s[0:1]
	v_cmp_gt_i32_e32 vcc, s45, v78
	s_and_saveexec_b64 s[0:1], vcc
	s_cbranch_execz .LBB9_40
.LBB9_57:
	v_add_co_u32_e32 v0, vcc, v16, v66
	v_addc_co_u32_e32 v1, vcc, 0, v17, vcc
	v_mul_f32_e32 v2, s47, v6
	global_store_dword v[0:1], v2, off offset:768
	s_or_b64 exec, exec, s[0:1]
	v_cmp_gt_i32_e32 vcc, s45, v77
	s_and_saveexec_b64 s[0:1], vcc
	s_cbranch_execz .LBB9_41
.LBB9_58:
	v_add_co_u32_e32 v0, vcc, v16, v66
	v_addc_co_u32_e32 v1, vcc, 0, v17, vcc
	v_mul_f32_e32 v2, s47, v7
	global_store_dword v[0:1], v2, off offset:896
	s_or_b64 exec, exec, s[0:1]
	v_cmp_gt_i32_e32 vcc, s45, v76
	s_and_saveexec_b64 s[0:1], vcc
	s_cbranch_execz .LBB9_42
.LBB9_59:
	v_add_co_u32_e32 v0, vcc, v16, v66
	v_addc_co_u32_e32 v1, vcc, 0, v17, vcc
	v_mul_f32_e32 v2, s47, v8
	global_store_dword v[0:1], v2, off offset:1024
	s_or_b64 exec, exec, s[0:1]
	v_cmp_gt_i32_e32 vcc, s45, v75
	s_and_saveexec_b64 s[0:1], vcc
	s_cbranch_execz .LBB9_43
.LBB9_60:
	v_add_co_u32_e32 v0, vcc, v16, v66
	v_addc_co_u32_e32 v1, vcc, 0, v17, vcc
	v_mul_f32_e32 v2, s47, v9
	global_store_dword v[0:1], v2, off offset:1152
	s_or_b64 exec, exec, s[0:1]
	v_cmp_gt_i32_e32 vcc, s45, v74
	s_and_saveexec_b64 s[0:1], vcc
	s_cbranch_execz .LBB9_44
.LBB9_61:
	v_add_co_u32_e32 v0, vcc, v16, v66
	v_addc_co_u32_e32 v1, vcc, 0, v17, vcc
	v_mul_f32_e32 v2, s47, v10
	global_store_dword v[0:1], v2, off offset:1280
	s_or_b64 exec, exec, s[0:1]
	v_cmp_gt_i32_e32 vcc, s45, v73
	s_and_saveexec_b64 s[0:1], vcc
	s_cbranch_execz .LBB9_45
.LBB9_62:
	v_add_co_u32_e32 v0, vcc, v16, v66
	v_addc_co_u32_e32 v1, vcc, 0, v17, vcc
	v_mul_f32_e32 v2, s47, v11
	global_store_dword v[0:1], v2, off offset:1408
	s_or_b64 exec, exec, s[0:1]
	v_cmp_gt_i32_e32 vcc, s45, v72
	s_and_saveexec_b64 s[0:1], vcc
	s_cbranch_execz .LBB9_46
.LBB9_63:
	v_add_co_u32_e32 v0, vcc, v16, v66
	v_addc_co_u32_e32 v1, vcc, 0, v17, vcc
	v_mul_f32_e32 v2, s47, v12
	global_store_dword v[0:1], v2, off offset:1536
	s_or_b64 exec, exec, s[0:1]
	v_cmp_gt_i32_e32 vcc, s45, v71
	s_and_saveexec_b64 s[0:1], vcc
	s_cbranch_execz .LBB9_47
.LBB9_64:
	v_add_co_u32_e32 v0, vcc, v16, v66
	v_addc_co_u32_e32 v1, vcc, 0, v17, vcc
	v_mul_f32_e32 v2, s47, v13
	global_store_dword v[0:1], v2, off offset:1664
	s_or_b64 exec, exec, s[0:1]
	v_cmp_gt_i32_e32 vcc, s45, v70
	s_and_saveexec_b64 s[0:1], vcc
	s_cbranch_execz .LBB9_48
.LBB9_65:
	v_add_co_u32_e32 v0, vcc, v16, v66
	v_addc_co_u32_e32 v1, vcc, 0, v17, vcc
	v_mul_f32_e32 v2, s47, v14
	global_store_dword v[0:1], v2, off offset:1792
	s_or_b64 exec, exec, s[0:1]
	v_cmp_gt_i32_e32 vcc, s45, v69
	s_and_b64 exec, exec, vcc
	s_cbranch_execnz .LBB9_49
	s_branch .LBB9_50
	.section	.rodata,"a",@progbits
	.p2align	6, 0x0
	.amdhsa_kernel _Z13topk_moe_cudaILi512ELb1EEvPKfPfPiS2_iiff15topk_moe_config
		.amdhsa_group_segment_fixed_size 0
		.amdhsa_private_segment_fixed_size 0
		.amdhsa_kernarg_size 312
		.amdhsa_user_sgpr_count 6
		.amdhsa_user_sgpr_private_segment_buffer 1
		.amdhsa_user_sgpr_dispatch_ptr 0
		.amdhsa_user_sgpr_queue_ptr 0
		.amdhsa_user_sgpr_kernarg_segment_ptr 1
		.amdhsa_user_sgpr_dispatch_id 0
		.amdhsa_user_sgpr_flat_scratch_init 0
		.amdhsa_user_sgpr_kernarg_preload_length 0
		.amdhsa_user_sgpr_kernarg_preload_offset 0
		.amdhsa_user_sgpr_private_segment_size 0
		.amdhsa_uses_dynamic_stack 0
		.amdhsa_system_sgpr_private_segment_wavefront_offset 0
		.amdhsa_system_sgpr_workgroup_id_x 1
		.amdhsa_system_sgpr_workgroup_id_y 0
		.amdhsa_system_sgpr_workgroup_id_z 0
		.amdhsa_system_sgpr_workgroup_info 0
		.amdhsa_system_vgpr_workitem_id 1
		.amdhsa_next_free_vgpr 93
		.amdhsa_next_free_sgpr 48
		.amdhsa_accum_offset 96
		.amdhsa_reserve_vcc 1
		.amdhsa_reserve_flat_scratch 0
		.amdhsa_float_round_mode_32 0
		.amdhsa_float_round_mode_16_64 0
		.amdhsa_float_denorm_mode_32 3
		.amdhsa_float_denorm_mode_16_64 3
		.amdhsa_dx10_clamp 1
		.amdhsa_ieee_mode 1
		.amdhsa_fp16_overflow 0
		.amdhsa_tg_split 0
		.amdhsa_exception_fp_ieee_invalid_op 0
		.amdhsa_exception_fp_denorm_src 0
		.amdhsa_exception_fp_ieee_div_zero 0
		.amdhsa_exception_fp_ieee_overflow 0
		.amdhsa_exception_fp_ieee_underflow 0
		.amdhsa_exception_fp_ieee_inexact 0
		.amdhsa_exception_int_div_zero 0
	.end_amdhsa_kernel
	.section	.text._Z13topk_moe_cudaILi512ELb1EEvPKfPfPiS2_iiff15topk_moe_config,"axG",@progbits,_Z13topk_moe_cudaILi512ELb1EEvPKfPfPiS2_iiff15topk_moe_config,comdat
.Lfunc_end9:
	.size	_Z13topk_moe_cudaILi512ELb1EEvPKfPfPiS2_iiff15topk_moe_config, .Lfunc_end9-_Z13topk_moe_cudaILi512ELb1EEvPKfPfPiS2_iiff15topk_moe_config
                                        ; -- End function
	.section	.AMDGPU.csdata,"",@progbits
; Kernel info:
; codeLenInByte = 10472
; NumSgprs: 52
; NumVgprs: 93
; NumAgprs: 0
; TotalNumVgprs: 93
; ScratchSize: 0
; MemoryBound: 0
; FloatMode: 240
; IeeeMode: 1
; LDSByteSize: 0 bytes/workgroup (compile time only)
; SGPRBlocks: 6
; VGPRBlocks: 11
; NumSGPRsForWavesPerEU: 52
; NumVGPRsForWavesPerEU: 93
; AccumOffset: 96
; Occupancy: 5
; WaveLimiterHint : 1
; COMPUTE_PGM_RSRC2:SCRATCH_EN: 0
; COMPUTE_PGM_RSRC2:USER_SGPR: 6
; COMPUTE_PGM_RSRC2:TRAP_HANDLER: 0
; COMPUTE_PGM_RSRC2:TGID_X_EN: 1
; COMPUTE_PGM_RSRC2:TGID_Y_EN: 0
; COMPUTE_PGM_RSRC2:TGID_Z_EN: 0
; COMPUTE_PGM_RSRC2:TIDIG_COMP_CNT: 1
; COMPUTE_PGM_RSRC3_GFX90A:ACCUM_OFFSET: 23
; COMPUTE_PGM_RSRC3_GFX90A:TG_SPLIT: 0
	.section	.text._Z13topk_moe_cudaILi576ELb1EEvPKfPfPiS2_iiff15topk_moe_config,"axG",@progbits,_Z13topk_moe_cudaILi576ELb1EEvPKfPfPiS2_iiff15topk_moe_config,comdat
	.protected	_Z13topk_moe_cudaILi576ELb1EEvPKfPfPiS2_iiff15topk_moe_config ; -- Begin function _Z13topk_moe_cudaILi576ELb1EEvPKfPfPiS2_iiff15topk_moe_config
	.globl	_Z13topk_moe_cudaILi576ELb1EEvPKfPfPiS2_iiff15topk_moe_config
	.p2align	8
	.type	_Z13topk_moe_cudaILi576ELb1EEvPKfPfPiS2_iiff15topk_moe_config,@function
_Z13topk_moe_cudaILi576ELb1EEvPKfPfPiS2_iiff15topk_moe_config: ; @_Z13topk_moe_cudaILi576ELb1EEvPKfPfPiS2_iiff15topk_moe_config
; %bb.0:
	s_load_dword s6, s[4:5], 0x44
	s_load_dwordx4 s[48:51], s[4:5], 0x20
	s_add_u32 s0, s0, s9
	s_addc_u32 s1, s1, 0
	v_bfe_u32 v1, v0, 10, 10
	s_waitcnt lgkmcnt(0)
	s_lshr_b32 s6, s6, 16
	s_mul_i32 s8, s8, s6
	v_add_u32_e32 v71, s8, v1
	v_cmp_gt_i32_e32 vcc, s48, v71
	s_and_saveexec_b64 s[6:7], vcc
	s_cbranch_execz .LBB10_73
; %bb.1:
	s_load_dwordx8 s[40:47], s[4:5], 0x0
	s_movk_i32 s6, 0x240
	v_mul_lo_u32 v2, v71, s6
	v_ashrrev_i32_e32 v3, 31, v2
	v_lshlrev_b64 v[2:3], 2, v[2:3]
	s_waitcnt lgkmcnt(0)
	v_mov_b32_e32 v1, s41
	v_add_co_u32_e32 v34, vcc, s40, v2
	v_and_b32_e32 v72, 0x3ff, v0
	v_addc_co_u32_e32 v35, vcc, v1, v3, vcc
	v_lshlrev_b32_e32 v69, 2, v72
	v_add_co_u32_e32 v0, vcc, v34, v69
	v_add_u32_e32 v70, 64, v72
	v_addc_co_u32_e32 v1, vcc, 0, v35, vcc
	v_lshlrev_b32_e32 v68, 2, v70
	v_add_u32_e32 v67, 0x60, v72
	v_add_co_u32_e32 v4, vcc, v34, v68
	v_addc_co_u32_e32 v5, vcc, 0, v35, vcc
	v_lshlrev_b32_e32 v65, 2, v67
	v_add_co_u32_e32 v6, vcc, v34, v65
	v_or_b32_e32 v66, 0x80, v72
	v_addc_co_u32_e32 v7, vcc, 0, v35, vcc
	v_lshlrev_b32_e32 v64, 2, v66
	v_add_u32_e32 v63, 0xa0, v72
	v_add_co_u32_e32 v8, vcc, v34, v64
	v_addc_co_u32_e32 v9, vcc, 0, v35, vcc
	v_lshlrev_b32_e32 v61, 2, v63
	v_add_co_u32_e32 v10, vcc, v34, v61
	v_add_u32_e32 v62, 0xc0, v72
	v_addc_co_u32_e32 v11, vcc, 0, v35, vcc
	v_lshlrev_b32_e32 v59, 2, v62
	v_add_u32_e32 v57, 0xe0, v72
	v_add_co_u32_e32 v20, vcc, v34, v59
	v_addc_co_u32_e32 v21, vcc, 0, v35, vcc
	v_lshlrev_b32_e32 v56, 2, v57
	v_add_co_u32_e32 v22, vcc, v34, v56
	v_or_b32_e32 v60, 0x100, v72
	v_addc_co_u32_e32 v23, vcc, 0, v35, vcc
	v_lshlrev_b32_e32 v58, 2, v60
	global_load_dword v19, v[0:1], off
	global_load_dword v18, v[0:1], off offset:128
	global_load_dword v16, v[4:5], off
	global_load_dword v17, v[6:7], off
	;; [unrolled: 1-line block ×6, first 2 shown]
	v_add_u32_e32 v55, 0x120, v72
	v_add_co_u32_e32 v0, vcc, v34, v58
	v_addc_co_u32_e32 v1, vcc, 0, v35, vcc
	v_lshlrev_b32_e32 v53, 2, v55
	v_add_co_u32_e32 v20, vcc, v34, v53
	v_add_u32_e32 v54, 0x140, v72
	v_addc_co_u32_e32 v21, vcc, 0, v35, vcc
	v_lshlrev_b32_e32 v52, 2, v54
	v_add_u32_e32 v51, 0x160, v72
	v_add_co_u32_e32 v22, vcc, v34, v52
	v_addc_co_u32_e32 v23, vcc, 0, v35, vcc
	v_lshlrev_b32_e32 v49, 2, v51
	v_add_co_u32_e32 v24, vcc, v34, v49
	v_or_b32_e32 v50, 0x180, v72
	v_addc_co_u32_e32 v25, vcc, 0, v35, vcc
	v_lshlrev_b32_e32 v48, 2, v50
	v_add_u32_e32 v47, 0x1a0, v72
	v_add_co_u32_e32 v26, vcc, v34, v48
	v_addc_co_u32_e32 v27, vcc, 0, v35, vcc
	v_lshlrev_b32_e32 v45, 2, v47
	v_add_co_u32_e32 v28, vcc, v34, v45
	v_add_u32_e32 v46, 0x1c0, v72
	v_addc_co_u32_e32 v29, vcc, 0, v35, vcc
	v_lshlrev_b32_e32 v43, 2, v46
	v_add_u32_e32 v41, 0x1e0, v72
	v_add_co_u32_e32 v30, vcc, v34, v43
	v_addc_co_u32_e32 v31, vcc, 0, v35, vcc
	v_lshlrev_b32_e32 v40, 2, v41
	v_add_co_u32_e32 v32, vcc, v34, v40
	v_addc_co_u32_e32 v33, vcc, 0, v35, vcc
	global_load_dword v10, v[0:1], off
	global_load_dword v11, v[20:21], off
	global_load_dword v8, v[22:23], off
	global_load_dword v9, v[24:25], off
	global_load_dword v6, v[26:27], off
	global_load_dword v7, v[28:29], off
	global_load_dword v4, v[30:31], off
	global_load_dword v5, v[32:33], off
	v_or_b32_e32 v44, 0x200, v72
	v_lshlrev_b32_e32 v42, 2, v44
	v_add_u32_e32 v39, 0x220, v72
	v_add_co_u32_e32 v20, vcc, v34, v42
	v_addc_co_u32_e32 v21, vcc, 0, v35, vcc
	v_lshlrev_b32_e32 v38, 2, v39
	v_add_co_u32_e32 v22, vcc, v34, v38
	v_mov_b32_e32 v73, 0
	v_addc_co_u32_e32 v23, vcc, 0, v35, vcc
	global_load_dword v0, v[20:21], off
	global_load_dword v1, v[22:23], off
	global_load_ushort v74, v73, s[4:5] offset:48
	s_load_dword s4, s[4:5], 0x30
	s_waitcnt lgkmcnt(0)
	s_bitcmp1_b32 s4, 16
	s_cselect_b64 s[8:9], -1, 0
	s_and_b64 vcc, exec, s[8:9]
	s_cbranch_vccnz .LBB10_7
; %bb.2:
	s_waitcnt vmcnt(0)
	v_and_b32_e32 v20, 1, v74
	v_cmp_eq_u32_e32 vcc, 0, v20
	s_cbranch_vccz .LBB10_4
; %bb.3:
	s_mov_b32 s4, 0xff800000
	v_max3_f32 v20, v19, s4, v18
	v_max3_f32 v20, v20, v16, v17
	;; [unrolled: 1-line block ×3, first 2 shown]
	v_mbcnt_lo_u32_b32 v21, -1, 0
	v_max3_f32 v20, v20, v12, v13
	v_mbcnt_hi_u32_b32 v21, -1, v21
	v_max3_f32 v20, v20, v10, v11
	v_and_b32_e32 v22, 0x60, v21
	v_max3_f32 v20, v20, v8, v9
	v_add_u32_e32 v22, 32, v22
	v_xor_b32_e32 v23, 16, v21
	v_max3_f32 v20, v20, v6, v7
	v_cmp_lt_i32_e32 vcc, v23, v22
	v_max3_f32 v20, v20, v4, v5
	v_cndmask_b32_e32 v23, v21, v23, vcc
	v_max3_f32 v20, v20, v0, v1
	v_lshlrev_b32_e32 v75, 2, v23
	ds_bpermute_b32 v23, v75, v20
	s_mov_b32 s6, 0x3fb8aa3b
	s_mov_b32 s4, 0xc2ce8ed0
	;; [unrolled: 1-line block ×3, first 2 shown]
	v_mov_b32_e32 v76, 0x7f800000
	s_waitcnt lgkmcnt(0)
	v_max_f32_e32 v23, v23, v23
	v_max_f32_e32 v20, v20, v23
	v_xor_b32_e32 v23, 8, v21
	v_cmp_lt_i32_e32 vcc, v23, v22
	v_cndmask_b32_e32 v23, v21, v23, vcc
	v_lshlrev_b32_e32 v78, 2, v23
	ds_bpermute_b32 v23, v78, v20
	s_waitcnt lgkmcnt(0)
	v_max_f32_e32 v23, v23, v23
	v_max_f32_e32 v20, v20, v23
	v_xor_b32_e32 v23, 4, v21
	v_cmp_lt_i32_e32 vcc, v23, v22
	v_cndmask_b32_e32 v23, v21, v23, vcc
	v_lshlrev_b32_e32 v79, 2, v23
	ds_bpermute_b32 v23, v79, v20
	;; [unrolled: 8-line block ×4, first 2 shown]
	s_waitcnt lgkmcnt(0)
	v_max_f32_e32 v21, v21, v21
	v_max_f32_e32 v24, v20, v21
	v_pk_add_f32 v[20:21], v[18:19], v[24:25] op_sel_hi:[1,0] neg_lo:[0,1] neg_hi:[0,1]
	v_mul_f32_e32 v22, 0x3fb8aa3b, v21
	v_fma_f32 v23, v21, s6, -v22
	v_rndne_f32_e32 v25, v22
	v_fmac_f32_e32 v23, 0x32a5705f, v21
	v_sub_f32_e32 v22, v22, v25
	v_add_f32_e32 v22, v22, v23
	v_exp_f32_e32 v22, v22
	v_cvt_i32_f32_e32 v23, v25
	v_cmp_ngt_f32_e32 vcc, s4, v21
	v_ldexp_f32 v22, v22, v23
	v_mul_f32_e32 v23, 0x3fb8aa3b, v20
	v_fma_f32 v25, v20, s6, -v23
	v_rndne_f32_e32 v26, v23
	v_fmac_f32_e32 v25, 0x32a5705f, v20
	v_sub_f32_e32 v23, v23, v26
	v_add_f32_e32 v23, v23, v25
	v_exp_f32_e32 v23, v23
	v_cvt_i32_f32_e32 v25, v26
	v_cndmask_b32_e32 v22, 0, v22, vcc
	v_cmp_nlt_f32_e32 vcc, s5, v21
	v_cndmask_b32_e32 v21, v76, v22, vcc
	v_ldexp_f32 v25, v23, v25
	v_pk_add_f32 v[22:23], v[16:17], v[24:25] op_sel_hi:[1,0] neg_lo:[0,1] neg_hi:[0,1]
	v_mul_f32_e32 v26, 0x3fb8aa3b, v23
	v_fma_f32 v27, v23, s6, -v26
	v_rndne_f32_e32 v28, v26
	v_fmac_f32_e32 v27, 0x32a5705f, v23
	v_sub_f32_e32 v26, v26, v28
	v_add_f32_e32 v26, v26, v27
	v_exp_f32_e32 v26, v26
	v_cvt_i32_f32_e32 v27, v28
	v_cmp_ngt_f32_e32 vcc, s4, v20
	v_cndmask_b32_e32 v25, 0, v25, vcc
	v_cmp_nlt_f32_e32 vcc, s5, v20
	v_cndmask_b32_e32 v20, v76, v25, vcc
	v_ldexp_f32 v25, v26, v27
	v_mul_f32_e32 v26, 0x3fb8aa3b, v22
	v_fma_f32 v27, v22, s6, -v26
	v_rndne_f32_e32 v28, v26
	v_fmac_f32_e32 v27, 0x32a5705f, v22
	v_sub_f32_e32 v26, v26, v28
	v_add_f32_e32 v26, v26, v27
	v_exp_f32_e32 v26, v26
	v_cvt_i32_f32_e32 v27, v28
	v_cmp_ngt_f32_e32 vcc, s4, v23
	v_cndmask_b32_e32 v25, 0, v25, vcc
	v_cmp_nlt_f32_e32 vcc, s5, v23
	v_cndmask_b32_e32 v23, v76, v25, vcc
	v_ldexp_f32 v25, v26, v27
	v_pk_add_f32 v[26:27], v[14:15], v[24:25] op_sel_hi:[1,0] neg_lo:[0,1] neg_hi:[0,1]
	v_mul_f32_e32 v28, 0x3fb8aa3b, v27
	v_fma_f32 v29, v27, s6, -v28
	v_rndne_f32_e32 v30, v28
	v_fmac_f32_e32 v29, 0x32a5705f, v27
	v_sub_f32_e32 v28, v28, v30
	v_add_f32_e32 v28, v28, v29
	v_exp_f32_e32 v28, v28
	v_cvt_i32_f32_e32 v29, v30
	v_cmp_ngt_f32_e32 vcc, s4, v22
	v_cndmask_b32_e32 v25, 0, v25, vcc
	v_cmp_nlt_f32_e32 vcc, s5, v22
	v_cndmask_b32_e32 v22, v76, v25, vcc
	v_ldexp_f32 v25, v28, v29
	v_mul_f32_e32 v28, 0x3fb8aa3b, v26
	v_fma_f32 v29, v26, s6, -v28
	v_rndne_f32_e32 v30, v28
	v_fmac_f32_e32 v29, 0x32a5705f, v26
	v_sub_f32_e32 v28, v28, v30
	v_add_f32_e32 v28, v28, v29
	v_exp_f32_e32 v28, v28
	v_cvt_i32_f32_e32 v29, v30
	v_cmp_ngt_f32_e32 vcc, s4, v27
	;; [unrolled: 27-line block ×7, first 2 shown]
	v_cndmask_b32_e32 v25, 0, v25, vcc
	v_cmp_nlt_f32_e32 vcc, s5, v37
	v_cndmask_b32_e32 v37, v76, v25, vcc
	v_pk_add_f32 v[24:25], v[0:1], v[24:25] op_sel_hi:[1,0] neg_lo:[0,1] neg_hi:[0,1]
	v_ldexp_f32 v77, v77, v82
	v_mul_f32_e32 v82, 0x3fb8aa3b, v25
	v_fma_f32 v83, v25, s6, -v82
	v_rndne_f32_e32 v84, v82
	v_fmac_f32_e32 v83, 0x32a5705f, v25
	v_sub_f32_e32 v82, v82, v84
	v_add_f32_e32 v82, v82, v83
	v_exp_f32_e32 v82, v82
	v_cvt_i32_f32_e32 v83, v84
	v_cmp_ngt_f32_e32 vcc, s4, v36
	v_cndmask_b32_e32 v77, 0, v77, vcc
	v_cmp_nlt_f32_e32 vcc, s5, v36
	v_cndmask_b32_e32 v36, v76, v77, vcc
	v_ldexp_f32 v77, v82, v83
	v_mul_f32_e32 v82, 0x3fb8aa3b, v24
	v_fma_f32 v83, v24, s6, -v82
	v_rndne_f32_e32 v84, v82
	v_fmac_f32_e32 v83, 0x32a5705f, v24
	v_sub_f32_e32 v82, v82, v84
	v_add_f32_e32 v82, v82, v83
	v_exp_f32_e32 v82, v82
	v_cvt_i32_f32_e32 v83, v84
	v_cmp_ngt_f32_e32 vcc, s4, v25
	v_cndmask_b32_e32 v77, 0, v77, vcc
	v_cmp_nlt_f32_e32 vcc, s5, v25
	v_cndmask_b32_e32 v77, v76, v77, vcc
	v_ldexp_f32 v25, v82, v83
	v_cmp_ngt_f32_e32 vcc, s4, v24
	v_cndmask_b32_e32 v25, 0, v25, vcc
	v_cmp_nlt_f32_e32 vcc, s5, v24
	v_add_f32_e32 v24, v21, v20
	v_add_f32_e32 v24, v22, v24
	;; [unrolled: 1-line block ×14, first 2 shown]
	v_cndmask_b32_e32 v76, v76, v25, vcc
	v_add_f32_e32 v24, v37, v24
	v_add_f32_e32 v24, v76, v24
	;; [unrolled: 1-line block ×3, first 2 shown]
	ds_bpermute_b32 v25, v75, v24
	s_waitcnt lgkmcnt(0)
	v_add_f32_e32 v24, v24, v25
	ds_bpermute_b32 v25, v78, v24
	s_waitcnt lgkmcnt(0)
	v_add_f32_e32 v24, v24, v25
	;; [unrolled: 3-line block ×5, first 2 shown]
	v_div_scale_f32 v25, s[4:5], v24, v24, 1.0
	v_rcp_f32_e32 v75, v25
	v_fma_f32 v78, -v25, v75, 1.0
	v_fmac_f32_e32 v75, v78, v75
	v_div_scale_f32 v78, vcc, 1.0, v24, 1.0
	v_mul_f32_e32 v79, v78, v75
	v_fma_f32 v80, -v25, v79, v78
	v_fmac_f32_e32 v79, v80, v75
	v_fma_f32 v25, -v25, v79, v78
	v_div_fmas_f32 v25, v25, v75, v79
	v_div_fixup_f32 v78, v25, v24, 1.0
	v_pk_mul_f32 v[20:21], v[20:21], v[78:79] op_sel_hi:[1,0]
	v_pk_mul_f32 v[22:23], v[22:23], v[78:79] op_sel_hi:[1,0]
	;; [unrolled: 1-line block ×9, first 2 shown]
	s_cbranch_execz .LBB10_5
	s_branch .LBB10_6
.LBB10_4:
                                        ; implicit-def: $vgpr21
                                        ; implicit-def: $vgpr37
                                        ; implicit-def: $vgpr35
                                        ; implicit-def: $vgpr33
                                        ; implicit-def: $vgpr31
                                        ; implicit-def: $vgpr29
                                        ; implicit-def: $vgpr27
                                        ; implicit-def: $vgpr25
                                        ; implicit-def: $vgpr23
.LBB10_5:
	v_mul_f32_e32 v20, 0xbfb8aa3b, v19
	s_mov_b32 s6, 0xbfb8aa3b
	v_rndne_f32_e32 v21, v20
	v_sub_f32_e32 v22, v20, v21
	v_fma_f32 v20, v19, s6, -v20
	v_fmac_f32_e32 v20, 0xb2a5705f, v19
	v_add_f32_e32 v20, v22, v20
	v_exp_f32_e32 v20, v20
	v_cvt_i32_f32_e32 v21, v21
	s_mov_b32 s7, 0x42ce8ed0
	v_cmp_nlt_f32_e32 vcc, s7, v19
	s_mov_b32 s10, 0xc2b17218
	v_ldexp_f32 v20, v20, v21
	v_mul_f32_e32 v21, 0xbfb8aa3b, v18
	v_rndne_f32_e32 v22, v21
	v_sub_f32_e32 v23, v21, v22
	v_fma_f32 v21, v18, s6, -v21
	v_fmac_f32_e32 v21, 0xb2a5705f, v18
	v_add_f32_e32 v21, v23, v21
	v_exp_f32_e32 v21, v21
	v_cvt_i32_f32_e32 v22, v22
	v_cndmask_b32_e32 v20, 0, v20, vcc
	v_mov_b32_e32 v35, 0x7f800000
	v_cmp_ngt_f32_e32 vcc, s10, v19
	v_cndmask_b32_e32 v19, v35, v20, vcc
	v_ldexp_f32 v20, v21, v22
	v_cmp_nlt_f32_e32 vcc, s7, v18
	v_cndmask_b32_e32 v20, 0, v20, vcc
	v_cmp_ngt_f32_e32 vcc, s10, v18
	v_cndmask_b32_e32 v18, v35, v20, vcc
	v_pk_add_f32 v[18:19], v[18:19], 1.0 op_sel_hi:[1,0]
	v_div_scale_f32 v20, s[4:5], v18, v18, 1.0
	v_rcp_f32_e32 v21, v20
	v_fma_f32 v22, -v20, v21, 1.0
	v_fmac_f32_e32 v21, v22, v21
	v_div_scale_f32 v22, vcc, 1.0, v18, 1.0
	v_mul_f32_e32 v23, v22, v21
	v_fma_f32 v24, -v20, v23, v22
	v_fmac_f32_e32 v23, v24, v21
	v_fma_f32 v20, -v20, v23, v22
	v_div_scale_f32 v22, s[4:5], v19, v19, 1.0
	v_rcp_f32_e32 v24, v22
	v_div_fmas_f32 v20, v20, v21, v23
	v_mul_f32_e32 v23, 0xbfb8aa3b, v17
	v_rndne_f32_e32 v25, v23
	v_sub_f32_e32 v26, v23, v25
	v_fma_f32 v23, v17, s6, -v23
	v_fmac_f32_e32 v23, 0xb2a5705f, v17
	v_div_fixup_f32 v20, v20, v18, 1.0
	v_fma_f32 v18, -v22, v24, 1.0
	v_add_f32_e32 v23, v26, v23
	v_fmac_f32_e32 v24, v18, v24
	v_div_scale_f32 v18, vcc, 1.0, v19, 1.0
	v_exp_f32_e32 v23, v23
	v_cvt_i32_f32_e32 v25, v25
	v_mul_f32_e32 v21, v18, v24
	v_fma_f32 v26, -v22, v21, v18
	v_fmac_f32_e32 v21, v26, v24
	v_fma_f32 v18, -v22, v21, v18
	v_ldexp_f32 v22, v23, v25
	v_mul_f32_e32 v23, 0xbfb8aa3b, v16
	v_rndne_f32_e32 v25, v23
	v_sub_f32_e32 v26, v23, v25
	v_fma_f32 v23, v16, s6, -v23
	v_fmac_f32_e32 v23, 0xb2a5705f, v16
	v_add_f32_e32 v23, v26, v23
	v_exp_f32_e32 v23, v23
	v_cvt_i32_f32_e32 v25, v25
	v_cmp_nlt_f32_e64 s[4:5], s7, v17
	v_cndmask_b32_e64 v22, 0, v22, s[4:5]
	v_cmp_ngt_f32_e64 s[4:5], s10, v17
	v_cndmask_b32_e64 v17, v35, v22, s[4:5]
	v_ldexp_f32 v22, v23, v25
	v_cmp_nlt_f32_e64 s[4:5], s7, v16
	v_cndmask_b32_e64 v22, 0, v22, s[4:5]
	v_cmp_ngt_f32_e64 s[4:5], s10, v16
	v_cndmask_b32_e64 v16, v35, v22, s[4:5]
	v_pk_add_f32 v[16:17], v[16:17], 1.0 op_sel_hi:[1,0]
	v_div_scale_f32 v22, s[4:5], v16, v16, 1.0
	v_rcp_f32_e32 v23, v22
	v_div_fmas_f32 v18, v18, v24, v21
	v_div_fixup_f32 v21, v18, v19, 1.0
	v_fma_f32 v18, -v22, v23, 1.0
	v_fmac_f32_e32 v23, v18, v23
	v_div_scale_f32 v18, vcc, 1.0, v16, 1.0
	v_mul_f32_e32 v19, v18, v23
	v_fma_f32 v24, -v22, v19, v18
	v_fmac_f32_e32 v19, v24, v23
	v_fma_f32 v18, -v22, v19, v18
	v_div_scale_f32 v24, s[4:5], v17, v17, 1.0
	v_div_fmas_f32 v18, v18, v23, v19
	v_mul_f32_e32 v19, 0xbfb8aa3b, v15
	v_rcp_f32_e32 v25, v24
	v_rndne_f32_e32 v23, v19
	v_sub_f32_e32 v26, v19, v23
	v_fma_f32 v19, v15, s6, -v19
	v_fmac_f32_e32 v19, 0xb2a5705f, v15
	v_add_f32_e32 v19, v26, v19
	v_div_fixup_f32 v22, v18, v16, 1.0
	v_fma_f32 v16, -v24, v25, 1.0
	v_exp_f32_e32 v19, v19
	v_cvt_i32_f32_e32 v23, v23
	v_fmac_f32_e32 v25, v16, v25
	v_div_scale_f32 v16, vcc, 1.0, v17, 1.0
	v_mul_f32_e32 v18, v16, v25
	v_fma_f32 v26, -v24, v18, v16
	v_fmac_f32_e32 v18, v26, v25
	v_ldexp_f32 v19, v19, v23
	v_mul_f32_e32 v23, 0xbfb8aa3b, v14
	v_fma_f32 v16, -v24, v18, v16
	v_rndne_f32_e32 v24, v23
	v_sub_f32_e32 v26, v23, v24
	v_fma_f32 v23, v14, s6, -v23
	v_fmac_f32_e32 v23, 0xb2a5705f, v14
	v_add_f32_e32 v23, v26, v23
	v_exp_f32_e32 v23, v23
	v_cvt_i32_f32_e32 v24, v24
	v_cmp_nlt_f32_e64 s[4:5], s7, v15
	v_cndmask_b32_e64 v19, 0, v19, s[4:5]
	v_cmp_ngt_f32_e64 s[4:5], s10, v15
	v_cndmask_b32_e64 v15, v35, v19, s[4:5]
	v_ldexp_f32 v19, v23, v24
	v_cmp_nlt_f32_e64 s[4:5], s7, v14
	v_cndmask_b32_e64 v19, 0, v19, s[4:5]
	v_cmp_ngt_f32_e64 s[4:5], s10, v14
	v_cndmask_b32_e64 v14, v35, v19, s[4:5]
	v_pk_add_f32 v[14:15], v[14:15], 1.0 op_sel_hi:[1,0]
	v_div_scale_f32 v19, s[4:5], v14, v14, 1.0
	v_rcp_f32_e32 v24, v19
	v_div_fmas_f32 v16, v16, v25, v18
	v_div_fixup_f32 v23, v16, v17, 1.0
	v_fma_f32 v16, -v19, v24, 1.0
	v_fmac_f32_e32 v24, v16, v24
	v_div_scale_f32 v16, vcc, 1.0, v14, 1.0
	v_mul_f32_e32 v17, v16, v24
	v_fma_f32 v18, -v19, v17, v16
	v_fmac_f32_e32 v17, v18, v24
	v_div_scale_f32 v18, s[4:5], v15, v15, 1.0
	v_fma_f32 v16, -v19, v17, v16
	v_rcp_f32_e32 v19, v18
	v_div_fmas_f32 v16, v16, v24, v17
	v_mul_f32_e32 v17, 0xbfb8aa3b, v13
	v_rndne_f32_e32 v25, v17
	v_sub_f32_e32 v26, v17, v25
	v_fma_f32 v17, v13, s6, -v17
	v_div_fixup_f32 v24, v16, v14, 1.0
	v_fma_f32 v14, -v18, v19, 1.0
	v_fmac_f32_e32 v17, 0xb2a5705f, v13
	v_fmac_f32_e32 v19, v14, v19
	v_div_scale_f32 v14, vcc, 1.0, v15, 1.0
	v_add_f32_e32 v17, v26, v17
	v_mul_f32_e32 v16, v14, v19
	v_exp_f32_e32 v17, v17
	v_cvt_i32_f32_e32 v25, v25
	v_fma_f32 v26, -v18, v16, v14
	v_fmac_f32_e32 v16, v26, v19
	v_fma_f32 v14, -v18, v16, v14
	v_mul_f32_e32 v18, 0xbfb8aa3b, v12
	v_ldexp_f32 v17, v17, v25
	v_rndne_f32_e32 v25, v18
	v_sub_f32_e32 v26, v18, v25
	v_fma_f32 v18, v12, s6, -v18
	v_fmac_f32_e32 v18, 0xb2a5705f, v12
	v_add_f32_e32 v18, v26, v18
	v_exp_f32_e32 v18, v18
	v_cvt_i32_f32_e32 v25, v25
	v_cmp_nlt_f32_e64 s[4:5], s7, v13
	v_cndmask_b32_e64 v17, 0, v17, s[4:5]
	v_cmp_ngt_f32_e64 s[4:5], s10, v13
	v_cndmask_b32_e64 v13, v35, v17, s[4:5]
	v_ldexp_f32 v17, v18, v25
	v_cmp_nlt_f32_e64 s[4:5], s7, v12
	v_cndmask_b32_e64 v17, 0, v17, s[4:5]
	v_cmp_ngt_f32_e64 s[4:5], s10, v12
	v_cndmask_b32_e64 v12, v35, v17, s[4:5]
	v_pk_add_f32 v[12:13], v[12:13], 1.0 op_sel_hi:[1,0]
	v_div_scale_f32 v17, s[4:5], v12, v12, 1.0
	v_rcp_f32_e32 v18, v17
	v_div_fmas_f32 v14, v14, v19, v16
	v_div_fixup_f32 v25, v14, v15, 1.0
	v_fma_f32 v14, -v17, v18, 1.0
	v_fmac_f32_e32 v18, v14, v18
	v_div_scale_f32 v14, vcc, 1.0, v12, 1.0
	v_mul_f32_e32 v15, v14, v18
	v_fma_f32 v16, -v17, v15, v14
	v_fmac_f32_e32 v15, v16, v18
	v_div_scale_f32 v16, s[4:5], v13, v13, 1.0
	v_fma_f32 v14, -v17, v15, v14
	v_rcp_f32_e32 v17, v16
	v_div_fmas_f32 v14, v14, v18, v15
	v_mul_f32_e32 v15, 0xbfb8aa3b, v11
	v_rndne_f32_e32 v18, v15
	v_sub_f32_e32 v19, v15, v18
	v_fma_f32 v15, v11, s6, -v15
	v_div_fixup_f32 v26, v14, v12, 1.0
	v_fma_f32 v12, -v16, v17, 1.0
	v_fmac_f32_e32 v15, 0xb2a5705f, v11
	v_fmac_f32_e32 v17, v12, v17
	v_div_scale_f32 v12, vcc, 1.0, v13, 1.0
	v_add_f32_e32 v15, v19, v15
	v_mul_f32_e32 v14, v12, v17
	v_exp_f32_e32 v15, v15
	v_cvt_i32_f32_e32 v18, v18
	v_fma_f32 v19, -v16, v14, v12
	v_fmac_f32_e32 v14, v19, v17
	v_fma_f32 v12, -v16, v14, v12
	v_mul_f32_e32 v16, 0xbfb8aa3b, v10
	v_ldexp_f32 v15, v15, v18
	;; [unrolled: 49-line block ×6, first 2 shown]
	v_rndne_f32_e32 v10, v8
	v_sub_f32_e32 v11, v8, v10
	v_fma_f32 v8, v0, s6, -v8
	v_fmac_f32_e32 v8, 0xb2a5705f, v0
	v_add_f32_e32 v8, v11, v8
	v_exp_f32_e32 v8, v8
	v_cvt_i32_f32_e32 v10, v10
	v_cmp_nlt_f32_e64 s[4:5], s7, v1
	v_cndmask_b32_e64 v7, 0, v7, s[4:5]
	v_cmp_ngt_f32_e64 s[4:5], s10, v1
	v_cndmask_b32_e64 v1, v35, v7, s[4:5]
	v_ldexp_f32 v7, v8, v10
	v_cmp_nlt_f32_e64 s[4:5], s7, v0
	v_cndmask_b32_e64 v7, 0, v7, s[4:5]
	v_cmp_ngt_f32_e64 s[4:5], s10, v0
	v_cndmask_b32_e64 v0, v35, v7, s[4:5]
	v_pk_add_f32 v[0:1], v[0:1], 1.0 op_sel_hi:[1,0]
	v_div_scale_f32 v7, s[4:5], v0, v0, 1.0
	v_rcp_f32_e32 v8, v7
	v_div_fmas_f32 v4, v4, v9, v6
	v_div_fixup_f32 v35, v4, v5, 1.0
	v_fma_f32 v4, -v7, v8, 1.0
	v_fmac_f32_e32 v8, v4, v8
	v_div_scale_f32 v4, vcc, 1.0, v0, 1.0
	v_mul_f32_e32 v5, v4, v8
	v_fma_f32 v6, -v7, v5, v4
	v_fmac_f32_e32 v5, v6, v8
	v_div_scale_f32 v6, s[4:5], v1, v1, 1.0
	v_fma_f32 v4, -v7, v5, v4
	v_rcp_f32_e32 v7, v6
	v_div_fmas_f32 v4, v4, v8, v5
	v_div_fixup_f32 v36, v4, v0, 1.0
	v_fma_f32 v0, -v6, v7, 1.0
	v_fmac_f32_e32 v7, v0, v7
	v_div_scale_f32 v0, vcc, 1.0, v1, 1.0
	v_mul_f32_e32 v4, v0, v7
	v_fma_f32 v5, -v6, v4, v0
	v_fmac_f32_e32 v4, v5, v7
	v_fma_f32 v0, -v6, v4, v0
	v_div_fmas_f32 v0, v0, v7, v4
	v_div_fixup_f32 v37, v0, v1, 1.0
.LBB10_6:
	v_mov_b32_e32 v16, v22
	v_mov_b32_e32 v17, v23
	;; [unrolled: 1-line block ×18, first 2 shown]
.LBB10_7:
	global_load_dword v22, v69, s[46:47]
	global_load_dword v23, v69, s[46:47] offset:128
	global_load_dword v24, v68, s[46:47]
	global_load_dword v25, v65, s[46:47]
	;; [unrolled: 1-line block ×16, first 2 shown]
	s_waitcnt vmcnt(18)
	v_lshrrev_b16_e32 v20, 8, v74
	v_mov_b32_e32 v74, 0xff7fffff
	v_cmp_o_f32_e32 vcc, v19, v19
	v_readfirstlane_b32 s6, v20
	v_cndmask_b32_e32 v20, v74, v19, vcc
	v_cmp_o_f32_e32 vcc, v18, v18
	v_cndmask_b32_e32 v21, v74, v18, vcc
	v_cmp_o_f32_e32 vcc, v17, v17
	;; [unrolled: 2-line block ×17, first 2 shown]
	v_cndmask_b32_e32 v0, v74, v0, vcc
	s_cmp_gt_i32 s49, 0
	s_waitcnt vmcnt(16)
	v_pk_add_f32 v[18:19], v[20:21], v[22:23]
	s_waitcnt vmcnt(14)
	v_pk_add_f32 v[22:23], v[16:17], v[24:25]
	;; [unrolled: 2-line block ×9, first 2 shown]
	buffer_store_dword v19, off, s[0:3], 0 offset:4
	buffer_store_dword v18, off, s[0:3], 0
	buffer_store_dword v23, off, s[0:3], 0 offset:12
	buffer_store_dword v22, off, s[0:3], 0 offset:8
	;; [unrolled: 1-line block ×34, first 2 shown]
	s_cbranch_scc1 .LBB10_9
; %bb.8:
	s_bitcmp1_b32 s6, 0
	s_mov_b64 s[4:5], 0
	s_mov_b32 s7, 0
	s_cselect_b64 s[10:11], -1, 0
	s_branch .LBB10_10
.LBB10_9:
	s_mov_b64 s[4:5], -1
                                        ; implicit-def: $sgpr7
                                        ; implicit-def: $sgpr10_sgpr11
.LBB10_10:
	v_add_u32_e32 v19, 32, v72
	s_andn2_b64 vcc, exec, s[4:5]
	v_mov_b32_e32 v26, s7
	v_mbcnt_lo_u32_b32 v25, -1, 0
	s_cbranch_vccnz .LBB10_31
; %bb.11:
	v_mov_b32_e32 v18, s45
	v_add_co_u32_e32 v2, vcc, s44, v2
	v_addc_co_u32_e32 v3, vcc, v18, v3, vcc
	v_mbcnt_hi_u32_b32 v18, -1, v25
	v_and_b32_e32 v22, 0x60, v18
	v_add_u32_e32 v22, 32, v22
	v_xor_b32_e32 v23, 16, v18
	v_cmp_lt_i32_e32 vcc, v23, v22
	v_cndmask_b32_e32 v23, v18, v23, vcc
	v_lshlrev_b32_e32 v27, 2, v23
	v_xor_b32_e32 v23, 8, v18
	v_cmp_lt_i32_e32 vcc, v23, v22
	v_cndmask_b32_e32 v23, v18, v23, vcc
	v_lshlrev_b32_e32 v28, 2, v23
	;; [unrolled: 4-line block ×4, first 2 shown]
	v_xor_b32_e32 v23, 1, v18
	v_cmp_lt_i32_e32 vcc, v23, v22
	s_bitcmp1_b32 s6, 0
	v_cndmask_b32_e32 v18, v18, v23, vcc
	s_mov_b32 s14, 0
	s_cselect_b64 s[10:11], -1, 0
	v_lshlrev_b32_e32 v31, 2, v18
	v_mov_b32_e32 v26, 0
	v_mov_b32_e32 v32, 0
	v_mov_b32_e32 v33, 0xff800000
	v_mov_b32_e32 v34, 0x50
	s_branch .LBB10_13
.LBB10_12:                              ;   in Loop: Header=BB10_13 Depth=1
	s_or_b64 exec, exec, s[4:5]
	s_add_i32 s14, s14, 1
	v_add_co_u32_e32 v2, vcc, 4, v2
	s_cmp_eq_u32 s49, s14
	v_addc_co_u32_e32 v3, vcc, 0, v3, vcc
	s_cbranch_scc1 .LBB10_31
.LBB10_13:                              ; =>This Inner Loop Header: Depth=1
	buffer_load_dword v18, off, s[0:3], 0
	buffer_load_dword v22, off, s[0:3], 0 offset:4
	buffer_load_dword v23, off, s[0:3], 0 offset:8
	;; [unrolled: 1-line block ×17, first 2 shown]
	s_waitcnt vmcnt(16)
	v_cmp_gt_f32_e32 vcc, v22, v18
	v_cndmask_b32_e32 v18, v18, v22, vcc
	v_cndmask_b32_e32 v84, v20, v21, vcc
	v_cndmask_b32_e32 v85, v72, v19, vcc
	s_waitcnt vmcnt(15)
	v_cmp_gt_f32_e32 vcc, v23, v18
	v_cndmask_b32_e32 v18, v18, v23, vcc
	v_cndmask_b32_e32 v22, v84, v16, vcc
	v_cndmask_b32_e32 v84, v85, v70, vcc
	;; [unrolled: 5-line block ×16, first 2 shown]
	s_waitcnt vmcnt(0)
	v_cmp_gt_f32_e32 vcc, v83, v18
	v_cndmask_b32_e32 v18, v18, v83, vcc
	v_cndmask_b32_e32 v23, v23, v39, vcc
	ds_bpermute_b32 v24, v27, v18
	ds_bpermute_b32 v35, v27, v23
	v_cndmask_b32_e32 v22, v22, v1, vcc
	ds_bpermute_b32 v37, v27, v22
	s_waitcnt lgkmcnt(2)
	v_cmp_eq_f32_e64 s[4:5], v18, v24
	s_waitcnt lgkmcnt(1)
	v_cmp_lt_i32_e64 s[6:7], v35, v23
	v_cmp_lt_f32_e32 vcc, v18, v24
	s_and_b64 s[4:5], s[4:5], s[6:7]
	s_or_b64 vcc, vcc, s[4:5]
	v_cndmask_b32_e32 v36, v23, v35, vcc
	v_cndmask_b32_e32 v35, v18, v24, vcc
	s_waitcnt lgkmcnt(0)
	v_cndmask_b32_e32 v18, v22, v37, vcc
	ds_bpermute_b32 v73, v28, v35
	ds_bpermute_b32 v37, v28, v36
	;; [unrolled: 1-line block ×3, first 2 shown]
                                        ; implicit-def: $vgpr22_vgpr23
	s_waitcnt lgkmcnt(2)
	v_cmp_lt_f32_e64 s[6:7], v35, v73
	v_cmp_nlt_f32_e32 vcc, v35, v73
	s_and_saveexec_b64 s[12:13], vcc
	s_cbranch_execz .LBB10_15
; %bb.14:                               ;   in Loop: Header=BB10_13 Depth=1
	v_cmp_eq_f32_e32 vcc, v35, v73
	s_waitcnt lgkmcnt(1)
	v_cmp_lt_i32_e64 s[4:5], v37, v36
	s_and_b64 s[4:5], vcc, s[4:5]
	s_andn2_b64 s[6:7], s[6:7], exec
	s_and_b64 s[4:5], s[4:5], exec
	s_or_b64 s[6:7], s[6:7], s[4:5]
	v_pk_mov_b32 v[22:23], v[18:19], v[18:19] op_sel:[0,1]
.LBB10_15:                              ;   in Loop: Header=BB10_13 Depth=1
	s_or_b64 exec, exec, s[12:13]
	s_and_saveexec_b64 s[4:5], s[6:7]
	s_cbranch_execz .LBB10_17
; %bb.16:                               ;   in Loop: Header=BB10_13 Depth=1
	v_mov_b32_e32 v35, v73
	s_waitcnt lgkmcnt(0)
	v_mov_b32_e32 v18, v24
	v_mov_b32_e32 v36, v37
	v_pk_mov_b32 v[22:23], v[24:25], v[24:25] op_sel:[0,1]
.LBB10_17:                              ;   in Loop: Header=BB10_13 Depth=1
	s_or_b64 exec, exec, s[4:5]
	s_waitcnt lgkmcnt(1)
	ds_bpermute_b32 v37, v29, v35
	s_waitcnt lgkmcnt(1)
	ds_bpermute_b32 v24, v29, v18
	ds_bpermute_b32 v23, v29, v36
	s_waitcnt lgkmcnt(2)
	v_cmp_lt_f32_e64 s[6:7], v35, v37
	v_cmp_nlt_f32_e32 vcc, v35, v37
	s_and_saveexec_b64 s[12:13], vcc
	s_cbranch_execz .LBB10_19
; %bb.18:                               ;   in Loop: Header=BB10_13 Depth=1
	v_cmp_eq_f32_e32 vcc, v35, v37
	s_waitcnt lgkmcnt(0)
	v_cmp_lt_i32_e64 s[4:5], v23, v36
	s_and_b64 s[4:5], vcc, s[4:5]
	s_andn2_b64 s[6:7], s[6:7], exec
	s_and_b64 s[4:5], s[4:5], exec
	s_or_b64 s[6:7], s[6:7], s[4:5]
.LBB10_19:                              ;   in Loop: Header=BB10_13 Depth=1
	s_or_b64 exec, exec, s[12:13]
	s_and_saveexec_b64 s[4:5], s[6:7]
	s_cbranch_execz .LBB10_21
; %bb.20:                               ;   in Loop: Header=BB10_13 Depth=1
	v_mov_b32_e32 v35, v37
	s_waitcnt lgkmcnt(1)
	v_mov_b32_e32 v18, v24
	s_waitcnt lgkmcnt(0)
	v_mov_b32_e32 v36, v23
	v_pk_mov_b32 v[22:23], v[24:25], v[24:25] op_sel:[0,1]
.LBB10_21:                              ;   in Loop: Header=BB10_13 Depth=1
	s_or_b64 exec, exec, s[4:5]
	ds_bpermute_b32 v37, v30, v35
	s_waitcnt lgkmcnt(2)
	ds_bpermute_b32 v24, v30, v18
	s_waitcnt lgkmcnt(2)
	;; [unrolled: 2-line block ×3, first 2 shown]
	v_cmp_lt_f32_e64 s[6:7], v35, v37
	v_cmp_nlt_f32_e32 vcc, v35, v37
	s_and_saveexec_b64 s[12:13], vcc
	s_cbranch_execz .LBB10_23
; %bb.22:                               ;   in Loop: Header=BB10_13 Depth=1
	v_cmp_eq_f32_e32 vcc, v35, v37
	s_waitcnt lgkmcnt(0)
	v_cmp_lt_i32_e64 s[4:5], v23, v36
	s_and_b64 s[4:5], vcc, s[4:5]
	s_andn2_b64 s[6:7], s[6:7], exec
	s_and_b64 s[4:5], s[4:5], exec
	s_or_b64 s[6:7], s[6:7], s[4:5]
.LBB10_23:                              ;   in Loop: Header=BB10_13 Depth=1
	s_or_b64 exec, exec, s[12:13]
	s_and_saveexec_b64 s[4:5], s[6:7]
	s_cbranch_execz .LBB10_25
; %bb.24:                               ;   in Loop: Header=BB10_13 Depth=1
	v_mov_b32_e32 v35, v37
	s_waitcnt lgkmcnt(1)
	v_mov_b32_e32 v18, v24
	s_waitcnt lgkmcnt(0)
	v_mov_b32_e32 v36, v23
	v_pk_mov_b32 v[22:23], v[24:25], v[24:25] op_sel:[0,1]
.LBB10_25:                              ;   in Loop: Header=BB10_13 Depth=1
	s_or_b64 exec, exec, s[4:5]
	s_waitcnt lgkmcnt(1)
	ds_bpermute_b32 v24, v31, v35
	ds_bpermute_b32 v37, v31, v36
	s_waitcnt lgkmcnt(2)
	ds_bpermute_b32 v23, v31, v18
	s_waitcnt lgkmcnt(2)
	v_cmp_eq_f32_e64 s[4:5], v35, v24
	s_waitcnt lgkmcnt(1)
	v_cmp_lt_i32_e64 s[6:7], v37, v36
	v_cmp_lt_f32_e32 vcc, v35, v24
	s_and_b64 s[4:5], s[4:5], s[6:7]
	s_or_b64 s[4:5], vcc, s[4:5]
	v_cndmask_b32_e64 v18, v36, v37, s[4:5]
	v_and_b32_e32 v24, 31, v18
	v_cmp_eq_u32_e32 vcc, v24, v72
	s_and_saveexec_b64 s[6:7], vcc
	s_cbranch_execz .LBB10_27
; %bb.26:                               ;   in Loop: Header=BB10_13 Depth=1
	v_ashrrev_i32_e32 v24, 31, v18
	v_lshrrev_b32_e32 v24, 27, v24
	v_add_u32_e32 v24, v18, v24
	v_ashrrev_i32_e32 v24, 5, v24
	v_lshl_add_u32 v24, v24, 2, v32
	buffer_store_dword v33, v24, s[0:3], 0 offen
.LBB10_27:                              ;   in Loop: Header=BB10_13 Depth=1
	s_or_b64 exec, exec, s[6:7]
	s_waitcnt lgkmcnt(0)
	v_cndmask_b32_e64 v22, v22, v23, s[4:5]
	s_and_b32 s4, s14, 31
	v_cmp_eq_u32_e64 s[4:5], s4, v72
	s_and_saveexec_b64 s[6:7], s[4:5]
	s_cbranch_execz .LBB10_29
; %bb.28:                               ;   in Loop: Header=BB10_13 Depth=1
	s_lshr_b32 s4, s14, 3
	s_and_b32 s4, s4, 0x1ffffffc
	v_add_u32_e32 v23, s4, v34
	buffer_store_dword v22, v23, s[0:3], 0 offen
.LBB10_29:                              ;   in Loop: Header=BB10_13 Depth=1
	s_or_b64 exec, exec, s[6:7]
	s_and_saveexec_b64 s[4:5], vcc
	s_cbranch_execz .LBB10_12
; %bb.30:                               ;   in Loop: Header=BB10_13 Depth=1
	v_add_f32_e32 v22, v26, v22
	v_cndmask_b32_e64 v26, v26, v22, s[10:11]
	global_store_dword v[2:3], v18, off
	s_branch .LBB10_12
.LBB10_31:
	s_and_b64 vcc, exec, s[10:11]
	s_cbranch_vccz .LBB10_33
; %bb.32:
	buffer_load_dword v0, off, s[0:3], 0 offset:80
	buffer_load_dword v1, off, s[0:3], 0 offset:84
	buffer_load_dword v2, off, s[0:3], 0 offset:88
	buffer_load_dword v3, off, s[0:3], 0 offset:92
	buffer_load_dword v4, off, s[0:3], 0 offset:96
	buffer_load_dword v5, off, s[0:3], 0 offset:100
	buffer_load_dword v6, off, s[0:3], 0 offset:104
	buffer_load_dword v7, off, s[0:3], 0 offset:108
	buffer_load_dword v8, off, s[0:3], 0 offset:112
	buffer_load_dword v9, off, s[0:3], 0 offset:116
	buffer_load_dword v10, off, s[0:3], 0 offset:120
	buffer_load_dword v11, off, s[0:3], 0 offset:124
	buffer_load_dword v12, off, s[0:3], 0 offset:128
	buffer_load_dword v13, off, s[0:3], 0 offset:132
	buffer_load_dword v14, off, s[0:3], 0 offset:136
	buffer_load_dword v15, off, s[0:3], 0 offset:140
	buffer_load_dword v17, off, s[0:3], 0 offset:148
	buffer_load_dword v16, off, s[0:3], 0 offset:144
	v_mbcnt_hi_u32_b32 v18, -1, v25
	v_and_b32_e32 v20, 0x60, v18
	v_xor_b32_e32 v21, 16, v18
	v_add_u32_e32 v20, 32, v20
	v_cmp_lt_i32_e32 vcc, v21, v20
	v_cndmask_b32_e32 v21, v18, v21, vcc
	v_lshlrev_b32_e32 v21, 2, v21
	ds_bpermute_b32 v21, v21, v26
	v_xor_b32_e32 v22, 8, v18
	v_cmp_lt_i32_e32 vcc, v22, v20
	v_cndmask_b32_e32 v22, v18, v22, vcc
	v_lshlrev_b32_e32 v22, 2, v22
	s_waitcnt lgkmcnt(0)
	v_add_f32_e32 v21, v26, v21
	ds_bpermute_b32 v22, v22, v21
	v_xor_b32_e32 v23, 4, v18
	v_cmp_lt_i32_e32 vcc, v23, v20
	v_cndmask_b32_e32 v23, v18, v23, vcc
	v_lshlrev_b32_e32 v23, 2, v23
	s_waitcnt lgkmcnt(0)
	v_add_f32_e32 v21, v21, v22
	;; [unrolled: 7-line block ×4, first 2 shown]
	ds_bpermute_b32 v18, v18, v20
	v_max_f32_e64 v21, s50, s50
	s_waitcnt lgkmcnt(0)
	v_add_f32_e32 v18, v20, v18
	v_max_f32_e32 v18, v18, v21
	v_div_scale_f32 v20, s[4:5], v18, v18, 1.0
	v_rcp_f32_e32 v21, v20
	v_div_scale_f32 v22, vcc, 1.0, v18, 1.0
	v_fma_f32 v23, -v20, v21, 1.0
	v_fmac_f32_e32 v21, v23, v21
	v_mul_f32_e32 v23, v22, v21
	v_fma_f32 v24, -v20, v23, v22
	v_fmac_f32_e32 v23, v24, v21
	v_fma_f32 v20, -v20, v23, v22
	v_div_fmas_f32 v20, v20, v21, v23
	v_div_fixup_f32 v18, v20, v18, 1.0
	s_waitcnt vmcnt(16)
	v_pk_mul_f32 v[0:1], v[18:19], v[0:1] op_sel_hi:[0,1]
	s_waitcnt vmcnt(14)
	v_pk_mul_f32 v[2:3], v[18:19], v[2:3] op_sel_hi:[0,1]
	;; [unrolled: 2-line block ×5, first 2 shown]
	buffer_store_dword v0, off, s[0:3], 0 offset:80
	buffer_store_dword v1, off, s[0:3], 0 offset:84
	;; [unrolled: 1-line block ×10, first 2 shown]
	s_waitcnt vmcnt(16)
	v_pk_mul_f32 v[0:1], v[18:19], v[10:11] op_sel_hi:[0,1]
	buffer_store_dword v0, off, s[0:3], 0 offset:120
	buffer_store_dword v1, off, s[0:3], 0 offset:124
	s_waitcnt vmcnt(16)
	v_pk_mul_f32 v[0:1], v[18:19], v[12:13] op_sel_hi:[0,1]
	buffer_store_dword v0, off, s[0:3], 0 offset:128
	buffer_store_dword v1, off, s[0:3], 0 offset:132
	s_waitcnt vmcnt(16)
	v_pk_mul_f32 v[0:1], v[18:19], v[14:15] op_sel_hi:[0,1]
	buffer_store_dword v0, off, s[0:3], 0 offset:136
	buffer_store_dword v1, off, s[0:3], 0 offset:140
	s_waitcnt vmcnt(16)
	v_pk_mul_f32 v[0:1], v[18:19], v[16:17] op_sel_hi:[0,1]
	buffer_store_dword v1, off, s[0:3], 0 offset:148
	buffer_store_dword v0, off, s[0:3], 0 offset:144
.LBB10_33:
	s_andn2_b64 vcc, exec, s[8:9]
	v_cmp_gt_i32_e64 s[38:39], s49, v19
	v_cmp_gt_i32_e64 s[40:41], s49, v72
	;; [unrolled: 1-line block ×18, first 2 shown]
	s_cbranch_vccnz .LBB10_54
; %bb.34:
	buffer_load_dword v16, off, s[0:3], 0 offset:80
	buffer_load_dword v17, off, s[0:3], 0 offset:84
	;; [unrolled: 1-line block ×18, first 2 shown]
	v_mbcnt_hi_u32_b32 v12, -1, v25
	v_and_b32_e32 v13, 0x60, v12
	v_xor_b32_e32 v22, 16, v12
	v_add_u32_e32 v24, 32, v13
	v_cmp_lt_i32_e32 vcc, v22, v24
	v_cndmask_b32_e32 v13, v12, v22, vcc
	v_mov_b32_e32 v18, 0xff800000
	v_lshlrev_b32_e32 v13, 2, v13
	v_xor_b32_e32 v23, 8, v12
	v_cmp_lt_i32_e32 vcc, v23, v24
	v_cndmask_b32_e32 v23, v12, v23, vcc
	s_mov_b32 s45, 0x3fb8aa3b
	s_mov_b32 s33, 0xc2ce8ed0
	;; [unrolled: 1-line block ×3, first 2 shown]
	s_waitcnt vmcnt(17)
	v_max_f32_e32 v22, v16, v16
	v_max_f32_e32 v22, 0xff800000, v22
	s_waitcnt vmcnt(16)
	v_max_f32_e32 v25, v17, v17
	v_cndmask_b32_e64 v18, v18, v22, s[40:41]
	v_max_f32_e32 v22, v18, v25
	s_waitcnt vmcnt(15)
	v_max_f32_e32 v26, v20, v20
	v_cndmask_b32_e64 v18, v18, v22, s[38:39]
	;; [unrolled: 4-line block ×4, first 2 shown]
	v_max_f32_e32 v22, v18, v28
	v_cndmask_b32_e64 v18, v18, v22, s[30:31]
	s_waitcnt vmcnt(12)
	v_max_f32_e32 v29, v15, v15
	v_max_f32_e32 v22, v18, v18
	v_max_f32_e32 v22, v22, v29
	v_cndmask_b32_e64 v18, v18, v22, s[28:29]
	s_waitcnt vmcnt(11)
	v_max_f32_e32 v30, v10, v10
	v_max_f32_e32 v22, v18, v18
	;; [unrolled: 5-line block ×13, first 2 shown]
	v_max_f32_e32 v22, v22, v76
	v_cndmask_b32_e64 v18, v18, v22, s[4:5]
	ds_bpermute_b32 v22, v13, v18
	v_max_f32_e32 v18, v18, v18
	v_lshlrev_b32_e32 v25, 2, v23
	v_xor_b32_e32 v23, 4, v12
	v_cmp_lt_i32_e32 vcc, v23, v24
	s_waitcnt lgkmcnt(0)
	v_max_f32_e32 v22, v22, v22
	v_max_f32_e32 v18, v18, v22
	ds_bpermute_b32 v22, v25, v18
	v_cndmask_b32_e32 v23, v12, v23, vcc
	v_lshlrev_b32_e32 v26, 2, v23
	v_xor_b32_e32 v23, 2, v12
	v_cmp_lt_i32_e32 vcc, v23, v24
	s_waitcnt lgkmcnt(0)
	v_max_f32_e32 v22, v22, v22
	v_max_f32_e32 v18, v18, v22
	ds_bpermute_b32 v22, v26, v18
	v_cndmask_b32_e32 v23, v12, v23, vcc
	;; [unrolled: 8-line block ×3, first 2 shown]
	v_lshlrev_b32_e32 v24, 2, v12
	v_mov_b32_e32 v28, 0x7f800000
	s_waitcnt lgkmcnt(0)
	v_max_f32_e32 v12, v22, v22
	v_max_f32_e32 v12, v18, v12
	ds_bpermute_b32 v18, v24, v12
	s_waitcnt lgkmcnt(0)
	v_max_f32_e32 v18, v18, v18
	v_max_f32_e32 v12, v12, v18
	v_pk_add_f32 v[16:17], v[16:17], v[12:13] op_sel_hi:[1,0] neg_lo:[0,1] neg_hi:[0,1]
	v_mul_f32_e32 v18, 0x3fb8aa3b, v17
	v_pk_add_f32 v[22:23], v[20:21], v[12:13] op_sel_hi:[1,0] neg_lo:[0,1] neg_hi:[0,1]
	v_mul_f32_e32 v20, 0x3fb8aa3b, v16
	v_fma_f32 v30, v17, s45, -v18
	v_rndne_f32_e32 v31, v18
	v_fma_f32 v32, v16, s45, -v20
	v_rndne_f32_e32 v33, v20
	v_fmac_f32_e32 v30, 0x32a5705f, v17
	v_sub_f32_e32 v18, v18, v31
	v_fmac_f32_e32 v32, 0x32a5705f, v16
	v_sub_f32_e32 v20, v20, v33
	v_add_f32_e32 v18, v18, v30
	v_cvt_i32_f32_e32 v31, v31
	v_add_f32_e32 v20, v20, v32
	v_exp_f32_e32 v18, v18
	v_cvt_i32_f32_e32 v33, v33
	v_exp_f32_e32 v20, v20
	v_mul_f32_e32 v21, 0x3fb8aa3b, v23
	v_fma_f32 v34, v23, s45, -v21
	v_rndne_f32_e32 v35, v21
	v_mul_f32_e32 v29, 0x3fb8aa3b, v22
	v_fmac_f32_e32 v34, 0x32a5705f, v23
	v_sub_f32_e32 v21, v21, v35
	v_ldexp_f32 v18, v18, v31
	v_cmp_ngt_f32_e32 vcc, s33, v17
	v_fma_f32 v36, v22, s45, -v29
	v_rndne_f32_e32 v37, v29
	v_add_f32_e32 v21, v21, v34
	v_ldexp_f32 v20, v20, v33
	v_cndmask_b32_e32 v18, 0, v18, vcc
	v_cmp_ngt_f32_e32 vcc, s33, v16
	v_cvt_i32_f32_e32 v35, v35
	v_fmac_f32_e32 v36, 0x32a5705f, v22
	v_sub_f32_e32 v29, v29, v37
	v_exp_f32_e32 v21, v21
	v_cndmask_b32_e32 v20, 0, v20, vcc
	v_cmp_nlt_f32_e32 vcc, s44, v17
	v_add_f32_e32 v29, v29, v36
	v_cndmask_b32_e32 v18, v28, v18, vcc
	v_cmp_nlt_f32_e32 vcc, s44, v16
	v_cvt_i32_f32_e32 v37, v37
	v_exp_f32_e32 v29, v29
	v_cndmask_b32_e32 v20, v28, v20, vcc
	v_cndmask_b32_e64 v16, 0, v20, s[40:41]
	v_ldexp_f32 v21, v21, v35
	v_cndmask_b32_e64 v17, 0, v18, s[38:39]
	v_add_f32_e32 v18, v18, v16
	v_cmp_ngt_f32_e32 vcc, s33, v23
	buffer_store_dword v16, off, s[0:3], 0 offset:80
	buffer_store_dword v17, off, s[0:3], 0 offset:84
	v_cndmask_b32_e64 v16, v16, v18, s[38:39]
	v_cndmask_b32_e32 v18, 0, v21, vcc
	v_cmp_nlt_f32_e32 vcc, s44, v23
	v_cndmask_b32_e32 v18, v28, v18, vcc
	v_ldexp_f32 v21, v29, v37
	v_cmp_ngt_f32_e32 vcc, s33, v22
	v_cndmask_b32_e32 v21, 0, v21, vcc
	v_cmp_nlt_f32_e32 vcc, s44, v22
	v_cndmask_b32_e32 v21, v28, v21, vcc
	v_add_f32_e32 v22, v21, v16
	v_cndmask_b32_e64 v22, v16, v22, s[36:37]
	v_pk_add_f32 v[14:15], v[14:15], v[12:13] op_sel_hi:[1,0] neg_lo:[0,1] neg_hi:[0,1]
	v_add_f32_e32 v23, v18, v22
	v_cndmask_b32_e64 v16, 0, v18, s[34:35]
	v_cndmask_b32_e64 v18, 0, v21, s[36:37]
	v_mul_f32_e32 v21, 0x3fb8aa3b, v15
	v_fma_f32 v29, v15, s45, -v21
	v_rndne_f32_e32 v30, v21
	v_fmac_f32_e32 v29, 0x32a5705f, v15
	v_sub_f32_e32 v21, v21, v30
	v_add_f32_e32 v21, v21, v29
	v_exp_f32_e32 v21, v21
	v_cvt_i32_f32_e32 v29, v30
	v_cndmask_b32_e64 v22, v22, v23, s[34:35]
	v_mul_f32_e32 v23, 0x3fb8aa3b, v14
	v_rndne_f32_e32 v30, v23
	v_ldexp_f32 v21, v21, v29
	v_fma_f32 v29, v14, s45, -v23
	v_fmac_f32_e32 v29, 0x32a5705f, v14
	v_sub_f32_e32 v23, v23, v30
	v_add_f32_e32 v23, v23, v29
	v_exp_f32_e32 v23, v23
	v_cvt_i32_f32_e32 v29, v30
	v_cmp_ngt_f32_e32 vcc, s33, v15
	v_cndmask_b32_e32 v21, 0, v21, vcc
	v_cmp_nlt_f32_e32 vcc, s44, v15
	v_cndmask_b32_e32 v15, v28, v21, vcc
	v_ldexp_f32 v21, v23, v29
	v_cmp_ngt_f32_e32 vcc, s33, v14
	v_cndmask_b32_e32 v21, 0, v21, vcc
	v_cmp_nlt_f32_e32 vcc, s44, v14
	v_cndmask_b32_e32 v21, v28, v21, vcc
	v_add_f32_e32 v14, v21, v22
	v_cndmask_b32_e64 v22, v22, v14, s[30:31]
	v_pk_add_f32 v[10:11], v[10:11], v[12:13] op_sel_hi:[1,0] neg_lo:[0,1] neg_hi:[0,1]
	v_add_f32_e32 v23, v15, v22
	v_cndmask_b32_e64 v14, 0, v15, s[28:29]
	v_cndmask_b32_e64 v15, 0, v21, s[30:31]
	v_mul_f32_e32 v21, 0x3fb8aa3b, v11
	v_fma_f32 v29, v11, s45, -v21
	v_rndne_f32_e32 v30, v21
	v_fmac_f32_e32 v29, 0x32a5705f, v11
	v_sub_f32_e32 v21, v21, v30
	v_add_f32_e32 v21, v21, v29
	v_exp_f32_e32 v21, v21
	v_cvt_i32_f32_e32 v29, v30
	v_cndmask_b32_e64 v22, v22, v23, s[28:29]
	v_mul_f32_e32 v23, 0x3fb8aa3b, v10
	v_rndne_f32_e32 v30, v23
	v_ldexp_f32 v21, v21, v29
	v_fma_f32 v29, v10, s45, -v23
	v_fmac_f32_e32 v29, 0x32a5705f, v10
	v_sub_f32_e32 v23, v23, v30
	v_add_f32_e32 v23, v23, v29
	v_exp_f32_e32 v23, v23
	v_cvt_i32_f32_e32 v29, v30
	v_cmp_ngt_f32_e32 vcc, s33, v11
	v_cndmask_b32_e32 v21, 0, v21, vcc
	v_cmp_nlt_f32_e32 vcc, s44, v11
	v_cndmask_b32_e32 v21, v28, v21, vcc
	v_ldexp_f32 v11, v23, v29
	v_cmp_ngt_f32_e32 vcc, s33, v10
	v_cndmask_b32_e32 v11, 0, v11, vcc
	v_cmp_nlt_f32_e32 vcc, s44, v10
	v_cndmask_b32_e32 v23, v28, v11, vcc
	v_add_f32_e32 v10, v23, v22
	v_cndmask_b32_e64 v22, v22, v10, s[26:27]
	v_pk_add_f32 v[10:11], v[8:9], v[12:13] op_sel_hi:[1,0] neg_lo:[0,1] neg_hi:[0,1]
	v_mul_f32_e32 v8, 0x3fb8aa3b, v11
	v_fma_f32 v9, v11, s45, -v8
	v_rndne_f32_e32 v29, v8
	v_fmac_f32_e32 v9, 0x32a5705f, v11
	v_sub_f32_e32 v8, v8, v29
	v_add_f32_e32 v8, v8, v9
	v_exp_f32_e32 v9, v8
	v_cvt_i32_f32_e32 v29, v29
	v_add_f32_e32 v30, v21, v22
	v_cndmask_b32_e64 v8, 0, v21, s[24:25]
	v_cndmask_b32_e64 v21, v22, v30, s[24:25]
	v_mul_f32_e32 v22, 0x3fb8aa3b, v10
	v_ldexp_f32 v9, v9, v29
	v_fma_f32 v29, v10, s45, -v22
	v_rndne_f32_e32 v30, v22
	v_fmac_f32_e32 v29, 0x32a5705f, v10
	v_sub_f32_e32 v22, v22, v30
	v_add_f32_e32 v22, v22, v29
	v_exp_f32_e32 v22, v22
	v_cvt_i32_f32_e32 v29, v30
	v_cmp_ngt_f32_e32 vcc, s33, v11
	v_pk_add_f32 v[6:7], v[6:7], v[12:13] op_sel_hi:[1,0] neg_lo:[0,1] neg_hi:[0,1]
	v_cndmask_b32_e32 v9, 0, v9, vcc
	v_cmp_nlt_f32_e32 vcc, s44, v11
	v_ldexp_f32 v11, v22, v29
	v_mul_f32_e32 v22, 0x3fb8aa3b, v7
	v_fma_f32 v29, v7, s45, -v22
	v_rndne_f32_e32 v30, v22
	v_cndmask_b32_e32 v9, v28, v9, vcc
	v_cmp_ngt_f32_e32 vcc, s33, v10
	v_fmac_f32_e32 v29, 0x32a5705f, v7
	v_sub_f32_e32 v22, v22, v30
	v_cndmask_b32_e32 v11, 0, v11, vcc
	v_cmp_nlt_f32_e32 vcc, s44, v10
	v_add_f32_e32 v22, v22, v29
	v_cndmask_b32_e32 v11, v28, v11, vcc
	v_exp_f32_e32 v22, v22
	v_cvt_i32_f32_e32 v29, v30
	v_add_f32_e32 v10, v11, v21
	v_cndmask_b32_e64 v10, v21, v10, s[22:23]
	v_add_f32_e32 v21, v9, v10
	v_cndmask_b32_e64 v10, v10, v21, s[20:21]
	v_ldexp_f32 v21, v22, v29
	v_mul_f32_e32 v22, 0x3fb8aa3b, v6
	v_fma_f32 v29, v6, s45, -v22
	v_rndne_f32_e32 v30, v22
	v_fmac_f32_e32 v29, 0x32a5705f, v6
	v_sub_f32_e32 v22, v22, v30
	v_add_f32_e32 v22, v22, v29
	v_exp_f32_e32 v22, v22
	v_cvt_i32_f32_e32 v29, v30
	v_cmp_ngt_f32_e32 vcc, s33, v7
	v_cndmask_b32_e32 v21, 0, v21, vcc
	v_cmp_nlt_f32_e32 vcc, s44, v7
	v_pk_add_f32 v[4:5], v[4:5], v[12:13] op_sel_hi:[1,0] neg_lo:[0,1] neg_hi:[0,1]
	v_cndmask_b32_e32 v7, v28, v21, vcc
	v_ldexp_f32 v21, v22, v29
	v_mul_f32_e32 v22, 0x3fb8aa3b, v5
	v_fma_f32 v29, v5, s45, -v22
	v_rndne_f32_e32 v30, v22
	v_cmp_ngt_f32_e32 vcc, s33, v6
	v_fmac_f32_e32 v29, 0x32a5705f, v5
	v_sub_f32_e32 v22, v22, v30
	v_cndmask_b32_e32 v21, 0, v21, vcc
	v_cmp_nlt_f32_e32 vcc, s44, v6
	v_add_f32_e32 v22, v22, v29
	v_cndmask_b32_e32 v6, v28, v21, vcc
	v_exp_f32_e32 v22, v22
	v_cvt_i32_f32_e32 v29, v30
	v_add_f32_e32 v21, v6, v10
	v_cndmask_b32_e64 v10, v10, v21, s[18:19]
	v_add_f32_e32 v21, v7, v10
	v_cndmask_b32_e64 v10, v10, v21, s[16:17]
	v_ldexp_f32 v21, v22, v29
	v_mul_f32_e32 v22, 0x3fb8aa3b, v4
	v_fma_f32 v29, v4, s45, -v22
	v_rndne_f32_e32 v30, v22
	v_fmac_f32_e32 v29, 0x32a5705f, v4
	v_sub_f32_e32 v22, v22, v30
	v_add_f32_e32 v22, v22, v29
	v_exp_f32_e32 v22, v22
	v_cvt_i32_f32_e32 v29, v30
	v_cmp_ngt_f32_e32 vcc, s33, v5
	v_cndmask_b32_e32 v21, 0, v21, vcc
	v_cmp_nlt_f32_e32 vcc, s44, v5
	v_pk_add_f32 v[0:1], v[0:1], v[12:13] op_sel_hi:[1,0] neg_lo:[0,1] neg_hi:[0,1]
	v_cndmask_b32_e32 v5, v28, v21, vcc
	v_ldexp_f32 v21, v22, v29
	v_mul_f32_e32 v22, 0x3fb8aa3b, v1
	v_fma_f32 v29, v1, s45, -v22
	v_rndne_f32_e32 v30, v22
	v_cmp_ngt_f32_e32 vcc, s33, v4
	v_fmac_f32_e32 v29, 0x32a5705f, v1
	v_sub_f32_e32 v22, v22, v30
	v_cndmask_b32_e32 v21, 0, v21, vcc
	v_cmp_nlt_f32_e32 vcc, s44, v4
	v_add_f32_e32 v22, v22, v29
	v_cndmask_b32_e32 v4, v28, v21, vcc
	v_exp_f32_e32 v22, v22
	v_cvt_i32_f32_e32 v29, v30
	v_add_f32_e32 v21, v4, v10
	v_cndmask_b32_e64 v10, v10, v21, s[14:15]
	v_add_f32_e32 v21, v5, v10
	v_cndmask_b32_e64 v10, v10, v21, s[12:13]
	v_ldexp_f32 v21, v22, v29
	v_mul_f32_e32 v22, 0x3fb8aa3b, v0
	v_fma_f32 v29, v0, s45, -v22
	v_rndne_f32_e32 v30, v22
	v_fmac_f32_e32 v29, 0x32a5705f, v0
	v_sub_f32_e32 v22, v22, v30
	v_add_f32_e32 v22, v22, v29
	v_exp_f32_e32 v22, v22
	v_cvt_i32_f32_e32 v29, v30
	v_cmp_ngt_f32_e32 vcc, s33, v1
	v_cndmask_b32_e32 v21, 0, v21, vcc
	v_cmp_nlt_f32_e32 vcc, s44, v1
	v_cndmask_b32_e32 v21, v28, v21, vcc
	v_ldexp_f32 v1, v22, v29
	v_cmp_ngt_f32_e32 vcc, s33, v0
	v_cndmask_b32_e32 v1, 0, v1, vcc
	v_cmp_nlt_f32_e32 vcc, s44, v0
	v_cndmask_b32_e32 v22, v28, v1, vcc
	v_pk_add_f32 v[0:1], v[2:3], v[12:13] op_sel_hi:[1,0] neg_lo:[0,1] neg_hi:[0,1]
	v_mul_f32_e32 v2, 0x3fb8aa3b, v1
	v_fma_f32 v3, v1, s45, -v2
	v_rndne_f32_e32 v12, v2
	v_fmac_f32_e32 v3, 0x32a5705f, v1
	v_sub_f32_e32 v2, v2, v12
	v_add_f32_e32 v2, v2, v3
	v_exp_f32_e32 v2, v2
	v_cvt_i32_f32_e32 v3, v12
	v_add_f32_e32 v29, v22, v10
	v_cndmask_b32_e64 v10, v10, v29, s[10:11]
	v_add_f32_e32 v12, v21, v10
	v_ldexp_f32 v2, v2, v3
	v_mul_f32_e32 v3, 0x3fb8aa3b, v0
	v_cndmask_b32_e64 v10, v10, v12, s[8:9]
	v_fma_f32 v12, v0, s45, -v3
	v_rndne_f32_e32 v29, v3
	v_fmac_f32_e32 v12, 0x32a5705f, v0
	v_sub_f32_e32 v3, v3, v29
	v_add_f32_e32 v3, v3, v12
	v_exp_f32_e32 v3, v3
	v_cvt_i32_f32_e32 v12, v29
	v_cmp_ngt_f32_e32 vcc, s33, v1
	v_cndmask_b32_e32 v2, 0, v2, vcc
	v_cmp_nlt_f32_e32 vcc, s44, v1
	v_cndmask_b32_e32 v2, v28, v2, vcc
	v_ldexp_f32 v1, v3, v12
	v_cmp_ngt_f32_e32 vcc, s33, v0
	v_cndmask_b32_e32 v1, 0, v1, vcc
	v_cmp_nlt_f32_e32 vcc, s44, v0
	v_cndmask_b32_e32 v3, v28, v1, vcc
	v_add_f32_e32 v0, v3, v10
	v_cndmask_b32_e64 v0, v10, v0, s[6:7]
	v_add_f32_e32 v1, v2, v0
	v_cndmask_b32_e64 v0, v0, v1, s[4:5]
	ds_bpermute_b32 v1, v13, v0
	v_cndmask_b32_e64 v10, 0, v9, s[20:21]
	v_cndmask_b32_e64 v9, 0, v6, s[18:19]
	v_cndmask_b32_e64 v6, 0, v4, s[14:15]
	v_cndmask_b32_e64 v4, 0, v22, s[10:11]
	s_waitcnt lgkmcnt(0)
	v_add_f32_e32 v0, v0, v1
	ds_bpermute_b32 v1, v25, v0
	v_cndmask_b32_e64 v12, 0, v23, s[26:27]
	v_cndmask_b32_e64 v11, 0, v11, s[22:23]
	;; [unrolled: 1-line block ×4, first 2 shown]
	s_waitcnt lgkmcnt(0)
	v_add_f32_e32 v0, v0, v1
	ds_bpermute_b32 v1, v26, v0
	buffer_store_dword v18, off, s[0:3], 0 offset:88
	buffer_store_dword v16, off, s[0:3], 0 offset:92
	;; [unrolled: 1-line block ×8, first 2 shown]
	s_waitcnt lgkmcnt(0)
	v_add_f32_e32 v0, v0, v1
	ds_bpermute_b32 v13, v27, v0
	v_cndmask_b32_e64 v1, 0, v21, s[8:9]
	buffer_store_dword v9, off, s[0:3], 0 offset:120
	buffer_store_dword v7, off, s[0:3], 0 offset:124
	;; [unrolled: 1-line block ×6, first 2 shown]
	s_waitcnt lgkmcnt(0)
	v_add_f32_e32 v13, v0, v13
	ds_bpermute_b32 v21, v24, v13
	v_cndmask_b32_e64 v0, 0, v2, s[4:5]
	v_cndmask_b32_e64 v2, 0, v3, s[6:7]
	buffer_store_dword v2, off, s[0:3], 0 offset:144
	buffer_store_dword v0, off, s[0:3], 0 offset:148
	s_waitcnt lgkmcnt(0)
	v_add_f32_e32 v13, v13, v21
	v_div_scale_f32 v21, s[44:45], v13, v13, 1.0
	v_rcp_f32_e32 v22, v21
	v_fma_f32 v3, -v21, v22, 1.0
	v_fmac_f32_e32 v22, v3, v22
	v_div_scale_f32 v3, vcc, 1.0, v13, 1.0
	v_mul_f32_e32 v23, v3, v22
	v_fma_f32 v24, -v21, v23, v3
	v_fmac_f32_e32 v23, v24, v22
	v_fma_f32 v3, -v21, v23, v3
	v_div_fmas_f32 v3, v3, v22, v23
	v_div_fixup_f32 v3, v3, v13, 1.0
	s_and_saveexec_b64 s[44:45], s[40:41]
	s_cbranch_execnz .LBB10_91
; %bb.35:
	s_or_b64 exec, exec, s[44:45]
	s_and_saveexec_b64 s[40:41], s[38:39]
	s_cbranch_execnz .LBB10_92
.LBB10_36:
	s_or_b64 exec, exec, s[40:41]
	s_and_saveexec_b64 s[38:39], s[36:37]
	s_cbranch_execnz .LBB10_93
.LBB10_37:
	s_or_b64 exec, exec, s[38:39]
	s_and_saveexec_b64 s[36:37], s[34:35]
	s_cbranch_execnz .LBB10_94
.LBB10_38:
	s_or_b64 exec, exec, s[36:37]
	s_and_saveexec_b64 s[34:35], s[30:31]
	s_cbranch_execnz .LBB10_95
.LBB10_39:
	s_or_b64 exec, exec, s[34:35]
	s_and_saveexec_b64 s[30:31], s[28:29]
	s_cbranch_execnz .LBB10_96
.LBB10_40:
	s_or_b64 exec, exec, s[30:31]
	s_and_saveexec_b64 s[28:29], s[26:27]
	s_cbranch_execnz .LBB10_97
.LBB10_41:
	s_or_b64 exec, exec, s[28:29]
	s_and_saveexec_b64 s[26:27], s[24:25]
	s_cbranch_execnz .LBB10_98
.LBB10_42:
	s_or_b64 exec, exec, s[26:27]
	s_and_saveexec_b64 s[24:25], s[22:23]
	s_cbranch_execnz .LBB10_99
.LBB10_43:
	s_or_b64 exec, exec, s[24:25]
	s_and_saveexec_b64 s[22:23], s[20:21]
	s_cbranch_execnz .LBB10_100
.LBB10_44:
	s_or_b64 exec, exec, s[22:23]
	s_and_saveexec_b64 s[20:21], s[18:19]
	s_cbranch_execnz .LBB10_101
.LBB10_45:
	s_or_b64 exec, exec, s[20:21]
	s_and_saveexec_b64 s[18:19], s[16:17]
	s_cbranch_execnz .LBB10_102
.LBB10_46:
	s_or_b64 exec, exec, s[18:19]
	s_and_saveexec_b64 s[16:17], s[14:15]
	s_cbranch_execnz .LBB10_103
.LBB10_47:
	s_or_b64 exec, exec, s[16:17]
	s_and_saveexec_b64 s[14:15], s[12:13]
	s_cbranch_execnz .LBB10_104
.LBB10_48:
	s_or_b64 exec, exec, s[14:15]
	s_and_saveexec_b64 s[12:13], s[10:11]
	s_cbranch_execnz .LBB10_105
.LBB10_49:
	s_or_b64 exec, exec, s[12:13]
	s_and_saveexec_b64 s[10:11], s[8:9]
	s_cbranch_execnz .LBB10_106
.LBB10_50:
	s_or_b64 exec, exec, s[10:11]
	s_and_saveexec_b64 s[8:9], s[6:7]
	s_cbranch_execnz .LBB10_107
.LBB10_51:
	s_or_b64 exec, exec, s[8:9]
	s_and_saveexec_b64 s[6:7], s[4:5]
	s_cbranch_execz .LBB10_53
.LBB10_52:
	v_mul_f32_e32 v0, v0, v3
	buffer_store_dword v0, off, s[0:3], 0 offset:148
.LBB10_53:
	s_or_b64 exec, exec, s[6:7]
.LBB10_54:
	v_mul_lo_u32 v0, v71, s49
	v_ashrrev_i32_e32 v1, 31, v0
	v_lshlrev_b64 v[0:1], 2, v[0:1]
	v_mov_b32_e32 v2, s43
	v_add_co_u32_e32 v0, vcc, s42, v0
	v_addc_co_u32_e32 v1, vcc, v2, v1, vcc
	v_cmp_gt_i32_e32 vcc, s49, v72
	s_and_saveexec_b64 s[4:5], vcc
	s_cbranch_execnz .LBB10_74
; %bb.55:
	s_or_b64 exec, exec, s[4:5]
	v_cmp_gt_i32_e32 vcc, s49, v19
	s_and_saveexec_b64 s[4:5], vcc
	s_cbranch_execnz .LBB10_75
.LBB10_56:
	s_or_b64 exec, exec, s[4:5]
	v_cmp_gt_i32_e32 vcc, s49, v70
	s_and_saveexec_b64 s[4:5], vcc
	s_cbranch_execnz .LBB10_76
.LBB10_57:
	s_or_b64 exec, exec, s[4:5]
	v_cmp_gt_i32_e32 vcc, s49, v67
	s_and_saveexec_b64 s[4:5], vcc
	s_cbranch_execnz .LBB10_77
.LBB10_58:
	s_or_b64 exec, exec, s[4:5]
	v_cmp_gt_i32_e32 vcc, s49, v66
	s_and_saveexec_b64 s[4:5], vcc
	s_cbranch_execnz .LBB10_78
.LBB10_59:
	s_or_b64 exec, exec, s[4:5]
	v_cmp_gt_i32_e32 vcc, s49, v63
	s_and_saveexec_b64 s[4:5], vcc
	s_cbranch_execnz .LBB10_79
.LBB10_60:
	s_or_b64 exec, exec, s[4:5]
	v_cmp_gt_i32_e32 vcc, s49, v62
	s_and_saveexec_b64 s[4:5], vcc
	s_cbranch_execnz .LBB10_80
.LBB10_61:
	s_or_b64 exec, exec, s[4:5]
	v_cmp_gt_i32_e32 vcc, s49, v57
	s_and_saveexec_b64 s[4:5], vcc
	s_cbranch_execnz .LBB10_81
.LBB10_62:
	s_or_b64 exec, exec, s[4:5]
	v_cmp_gt_i32_e32 vcc, s49, v60
	s_and_saveexec_b64 s[4:5], vcc
	s_cbranch_execnz .LBB10_82
.LBB10_63:
	s_or_b64 exec, exec, s[4:5]
	v_cmp_gt_i32_e32 vcc, s49, v55
	s_and_saveexec_b64 s[4:5], vcc
	s_cbranch_execnz .LBB10_83
.LBB10_64:
	s_or_b64 exec, exec, s[4:5]
	v_cmp_gt_i32_e32 vcc, s49, v54
	s_and_saveexec_b64 s[4:5], vcc
	s_cbranch_execnz .LBB10_84
.LBB10_65:
	s_or_b64 exec, exec, s[4:5]
	v_cmp_gt_i32_e32 vcc, s49, v51
	s_and_saveexec_b64 s[4:5], vcc
	s_cbranch_execnz .LBB10_85
.LBB10_66:
	s_or_b64 exec, exec, s[4:5]
	v_cmp_gt_i32_e32 vcc, s49, v50
	s_and_saveexec_b64 s[4:5], vcc
	s_cbranch_execnz .LBB10_86
.LBB10_67:
	s_or_b64 exec, exec, s[4:5]
	v_cmp_gt_i32_e32 vcc, s49, v47
	s_and_saveexec_b64 s[4:5], vcc
	s_cbranch_execnz .LBB10_87
.LBB10_68:
	s_or_b64 exec, exec, s[4:5]
	v_cmp_gt_i32_e32 vcc, s49, v46
	s_and_saveexec_b64 s[4:5], vcc
	s_cbranch_execnz .LBB10_88
.LBB10_69:
	s_or_b64 exec, exec, s[4:5]
	v_cmp_gt_i32_e32 vcc, s49, v41
	s_and_saveexec_b64 s[4:5], vcc
	s_cbranch_execnz .LBB10_89
.LBB10_70:
	s_or_b64 exec, exec, s[4:5]
	v_cmp_gt_i32_e32 vcc, s49, v44
	s_and_saveexec_b64 s[4:5], vcc
	s_cbranch_execnz .LBB10_90
.LBB10_71:
	s_or_b64 exec, exec, s[4:5]
	v_cmp_gt_i32_e32 vcc, s49, v39
	s_and_b64 exec, exec, vcc
	s_cbranch_execz .LBB10_73
.LBB10_72:
	buffer_load_dword v2, off, s[0:3], 0 offset:148
	v_add_co_u32_e32 v0, vcc, v0, v38
	v_addc_co_u32_e32 v1, vcc, 0, v1, vcc
	s_waitcnt vmcnt(0)
	v_mul_f32_e32 v2, s51, v2
	global_store_dword v[0:1], v2, off
.LBB10_73:
	s_endpgm
.LBB10_74:
	buffer_load_dword v4, off, s[0:3], 0 offset:80
	v_add_co_u32_e32 v2, vcc, v0, v69
	v_addc_co_u32_e32 v3, vcc, 0, v1, vcc
	s_waitcnt vmcnt(0)
	v_mul_f32_e32 v4, s51, v4
	global_store_dword v[2:3], v4, off
	s_or_b64 exec, exec, s[4:5]
	v_cmp_gt_i32_e32 vcc, s49, v19
	s_and_saveexec_b64 s[4:5], vcc
	s_cbranch_execz .LBB10_56
.LBB10_75:
	buffer_load_dword v4, off, s[0:3], 0 offset:84
	v_add_co_u32_e32 v2, vcc, v0, v69
	v_addc_co_u32_e32 v3, vcc, 0, v1, vcc
	s_waitcnt vmcnt(0)
	v_mul_f32_e32 v4, s51, v4
	global_store_dword v[2:3], v4, off offset:128
	s_or_b64 exec, exec, s[4:5]
	v_cmp_gt_i32_e32 vcc, s49, v70
	s_and_saveexec_b64 s[4:5], vcc
	s_cbranch_execz .LBB10_57
.LBB10_76:
	buffer_load_dword v4, off, s[0:3], 0 offset:88
	v_add_co_u32_e32 v2, vcc, v0, v68
	v_addc_co_u32_e32 v3, vcc, 0, v1, vcc
	s_waitcnt vmcnt(0)
	v_mul_f32_e32 v4, s51, v4
	global_store_dword v[2:3], v4, off
	s_or_b64 exec, exec, s[4:5]
	v_cmp_gt_i32_e32 vcc, s49, v67
	s_and_saveexec_b64 s[4:5], vcc
	s_cbranch_execz .LBB10_58
.LBB10_77:
	buffer_load_dword v4, off, s[0:3], 0 offset:92
	v_add_co_u32_e32 v2, vcc, v0, v65
	v_addc_co_u32_e32 v3, vcc, 0, v1, vcc
	s_waitcnt vmcnt(0)
	v_mul_f32_e32 v4, s51, v4
	global_store_dword v[2:3], v4, off
	s_or_b64 exec, exec, s[4:5]
	v_cmp_gt_i32_e32 vcc, s49, v66
	s_and_saveexec_b64 s[4:5], vcc
	s_cbranch_execz .LBB10_59
.LBB10_78:
	buffer_load_dword v4, off, s[0:3], 0 offset:96
	v_add_co_u32_e32 v2, vcc, v0, v64
	v_addc_co_u32_e32 v3, vcc, 0, v1, vcc
	s_waitcnt vmcnt(0)
	v_mul_f32_e32 v4, s51, v4
	global_store_dword v[2:3], v4, off
	s_or_b64 exec, exec, s[4:5]
	v_cmp_gt_i32_e32 vcc, s49, v63
	s_and_saveexec_b64 s[4:5], vcc
	s_cbranch_execz .LBB10_60
.LBB10_79:
	buffer_load_dword v4, off, s[0:3], 0 offset:100
	v_add_co_u32_e32 v2, vcc, v0, v61
	v_addc_co_u32_e32 v3, vcc, 0, v1, vcc
	s_waitcnt vmcnt(0)
	v_mul_f32_e32 v4, s51, v4
	global_store_dword v[2:3], v4, off
	s_or_b64 exec, exec, s[4:5]
	v_cmp_gt_i32_e32 vcc, s49, v62
	s_and_saveexec_b64 s[4:5], vcc
	s_cbranch_execz .LBB10_61
.LBB10_80:
	buffer_load_dword v4, off, s[0:3], 0 offset:104
	v_add_co_u32_e32 v2, vcc, v0, v59
	v_addc_co_u32_e32 v3, vcc, 0, v1, vcc
	s_waitcnt vmcnt(0)
	v_mul_f32_e32 v4, s51, v4
	global_store_dword v[2:3], v4, off
	s_or_b64 exec, exec, s[4:5]
	v_cmp_gt_i32_e32 vcc, s49, v57
	s_and_saveexec_b64 s[4:5], vcc
	s_cbranch_execz .LBB10_62
.LBB10_81:
	buffer_load_dword v4, off, s[0:3], 0 offset:108
	v_add_co_u32_e32 v2, vcc, v0, v56
	v_addc_co_u32_e32 v3, vcc, 0, v1, vcc
	s_waitcnt vmcnt(0)
	v_mul_f32_e32 v4, s51, v4
	global_store_dword v[2:3], v4, off
	s_or_b64 exec, exec, s[4:5]
	v_cmp_gt_i32_e32 vcc, s49, v60
	s_and_saveexec_b64 s[4:5], vcc
	s_cbranch_execz .LBB10_63
.LBB10_82:
	buffer_load_dword v4, off, s[0:3], 0 offset:112
	v_add_co_u32_e32 v2, vcc, v0, v58
	v_addc_co_u32_e32 v3, vcc, 0, v1, vcc
	s_waitcnt vmcnt(0)
	v_mul_f32_e32 v4, s51, v4
	global_store_dword v[2:3], v4, off
	s_or_b64 exec, exec, s[4:5]
	v_cmp_gt_i32_e32 vcc, s49, v55
	s_and_saveexec_b64 s[4:5], vcc
	s_cbranch_execz .LBB10_64
.LBB10_83:
	buffer_load_dword v4, off, s[0:3], 0 offset:116
	v_add_co_u32_e32 v2, vcc, v0, v53
	v_addc_co_u32_e32 v3, vcc, 0, v1, vcc
	s_waitcnt vmcnt(0)
	v_mul_f32_e32 v4, s51, v4
	global_store_dword v[2:3], v4, off
	s_or_b64 exec, exec, s[4:5]
	v_cmp_gt_i32_e32 vcc, s49, v54
	s_and_saveexec_b64 s[4:5], vcc
	s_cbranch_execz .LBB10_65
.LBB10_84:
	buffer_load_dword v4, off, s[0:3], 0 offset:120
	v_add_co_u32_e32 v2, vcc, v0, v52
	v_addc_co_u32_e32 v3, vcc, 0, v1, vcc
	s_waitcnt vmcnt(0)
	v_mul_f32_e32 v4, s51, v4
	global_store_dword v[2:3], v4, off
	s_or_b64 exec, exec, s[4:5]
	v_cmp_gt_i32_e32 vcc, s49, v51
	s_and_saveexec_b64 s[4:5], vcc
	s_cbranch_execz .LBB10_66
.LBB10_85:
	buffer_load_dword v4, off, s[0:3], 0 offset:124
	v_add_co_u32_e32 v2, vcc, v0, v49
	v_addc_co_u32_e32 v3, vcc, 0, v1, vcc
	s_waitcnt vmcnt(0)
	v_mul_f32_e32 v4, s51, v4
	global_store_dword v[2:3], v4, off
	s_or_b64 exec, exec, s[4:5]
	v_cmp_gt_i32_e32 vcc, s49, v50
	s_and_saveexec_b64 s[4:5], vcc
	s_cbranch_execz .LBB10_67
.LBB10_86:
	buffer_load_dword v4, off, s[0:3], 0 offset:128
	v_add_co_u32_e32 v2, vcc, v0, v48
	v_addc_co_u32_e32 v3, vcc, 0, v1, vcc
	s_waitcnt vmcnt(0)
	v_mul_f32_e32 v4, s51, v4
	global_store_dword v[2:3], v4, off
	s_or_b64 exec, exec, s[4:5]
	v_cmp_gt_i32_e32 vcc, s49, v47
	s_and_saveexec_b64 s[4:5], vcc
	s_cbranch_execz .LBB10_68
.LBB10_87:
	buffer_load_dword v4, off, s[0:3], 0 offset:132
	v_add_co_u32_e32 v2, vcc, v0, v45
	v_addc_co_u32_e32 v3, vcc, 0, v1, vcc
	s_waitcnt vmcnt(0)
	v_mul_f32_e32 v4, s51, v4
	global_store_dword v[2:3], v4, off
	s_or_b64 exec, exec, s[4:5]
	v_cmp_gt_i32_e32 vcc, s49, v46
	s_and_saveexec_b64 s[4:5], vcc
	s_cbranch_execz .LBB10_69
.LBB10_88:
	buffer_load_dword v4, off, s[0:3], 0 offset:136
	v_add_co_u32_e32 v2, vcc, v0, v43
	v_addc_co_u32_e32 v3, vcc, 0, v1, vcc
	s_waitcnt vmcnt(0)
	v_mul_f32_e32 v4, s51, v4
	global_store_dword v[2:3], v4, off
	s_or_b64 exec, exec, s[4:5]
	v_cmp_gt_i32_e32 vcc, s49, v41
	s_and_saveexec_b64 s[4:5], vcc
	s_cbranch_execz .LBB10_70
.LBB10_89:
	buffer_load_dword v4, off, s[0:3], 0 offset:140
	v_add_co_u32_e32 v2, vcc, v0, v40
	v_addc_co_u32_e32 v3, vcc, 0, v1, vcc
	s_waitcnt vmcnt(0)
	v_mul_f32_e32 v4, s51, v4
	global_store_dword v[2:3], v4, off
	s_or_b64 exec, exec, s[4:5]
	v_cmp_gt_i32_e32 vcc, s49, v44
	s_and_saveexec_b64 s[4:5], vcc
	s_cbranch_execz .LBB10_71
.LBB10_90:
	buffer_load_dword v4, off, s[0:3], 0 offset:144
	v_add_co_u32_e32 v2, vcc, v0, v42
	v_addc_co_u32_e32 v3, vcc, 0, v1, vcc
	s_waitcnt vmcnt(0)
	v_mul_f32_e32 v4, s51, v4
	global_store_dword v[2:3], v4, off
	s_or_b64 exec, exec, s[4:5]
	v_cmp_gt_i32_e32 vcc, s49, v39
	s_and_b64 exec, exec, vcc
	s_cbranch_execnz .LBB10_72
	s_branch .LBB10_73
.LBB10_91:
	v_mul_f32_e32 v13, v20, v3
	buffer_store_dword v13, off, s[0:3], 0 offset:80
	s_or_b64 exec, exec, s[44:45]
	s_and_saveexec_b64 s[40:41], s[38:39]
	s_cbranch_execz .LBB10_36
.LBB10_92:
	v_mul_f32_e32 v13, v17, v3
	buffer_store_dword v13, off, s[0:3], 0 offset:84
	s_or_b64 exec, exec, s[40:41]
	s_and_saveexec_b64 s[38:39], s[36:37]
	s_cbranch_execz .LBB10_37
.LBB10_93:
	v_mul_f32_e32 v13, v18, v3
	buffer_store_dword v13, off, s[0:3], 0 offset:88
	s_or_b64 exec, exec, s[38:39]
	s_and_saveexec_b64 s[36:37], s[34:35]
	s_cbranch_execz .LBB10_38
.LBB10_94:
	v_mul_f32_e32 v13, v16, v3
	buffer_store_dword v13, off, s[0:3], 0 offset:92
	s_or_b64 exec, exec, s[36:37]
	s_and_saveexec_b64 s[34:35], s[30:31]
	s_cbranch_execz .LBB10_39
.LBB10_95:
	v_mul_f32_e32 v13, v15, v3
	buffer_store_dword v13, off, s[0:3], 0 offset:96
	s_or_b64 exec, exec, s[34:35]
	s_and_saveexec_b64 s[30:31], s[28:29]
	s_cbranch_execz .LBB10_40
.LBB10_96:
	v_mul_f32_e32 v13, v14, v3
	buffer_store_dword v13, off, s[0:3], 0 offset:100
	s_or_b64 exec, exec, s[30:31]
	s_and_saveexec_b64 s[28:29], s[26:27]
	s_cbranch_execz .LBB10_41
.LBB10_97:
	v_mul_f32_e32 v12, v12, v3
	buffer_store_dword v12, off, s[0:3], 0 offset:104
	s_or_b64 exec, exec, s[28:29]
	s_and_saveexec_b64 s[26:27], s[24:25]
	s_cbranch_execz .LBB10_42
.LBB10_98:
	v_mul_f32_e32 v8, v8, v3
	buffer_store_dword v8, off, s[0:3], 0 offset:108
	s_or_b64 exec, exec, s[26:27]
	s_and_saveexec_b64 s[24:25], s[22:23]
	s_cbranch_execz .LBB10_43
.LBB10_99:
	v_mul_f32_e32 v8, v11, v3
	buffer_store_dword v8, off, s[0:3], 0 offset:112
	s_or_b64 exec, exec, s[24:25]
	s_and_saveexec_b64 s[22:23], s[20:21]
	s_cbranch_execz .LBB10_44
.LBB10_100:
	v_mul_f32_e32 v8, v10, v3
	buffer_store_dword v8, off, s[0:3], 0 offset:116
	s_or_b64 exec, exec, s[22:23]
	s_and_saveexec_b64 s[20:21], s[18:19]
	s_cbranch_execz .LBB10_45
.LBB10_101:
	v_mul_f32_e32 v8, v9, v3
	buffer_store_dword v8, off, s[0:3], 0 offset:120
	s_or_b64 exec, exec, s[20:21]
	s_and_saveexec_b64 s[18:19], s[16:17]
	s_cbranch_execz .LBB10_46
.LBB10_102:
	v_mul_f32_e32 v7, v7, v3
	buffer_store_dword v7, off, s[0:3], 0 offset:124
	s_or_b64 exec, exec, s[18:19]
	s_and_saveexec_b64 s[16:17], s[14:15]
	s_cbranch_execz .LBB10_47
.LBB10_103:
	v_mul_f32_e32 v6, v6, v3
	buffer_store_dword v6, off, s[0:3], 0 offset:128
	s_or_b64 exec, exec, s[16:17]
	s_and_saveexec_b64 s[14:15], s[12:13]
	s_cbranch_execz .LBB10_48
.LBB10_104:
	v_mul_f32_e32 v5, v5, v3
	buffer_store_dword v5, off, s[0:3], 0 offset:132
	s_or_b64 exec, exec, s[14:15]
	s_and_saveexec_b64 s[12:13], s[10:11]
	s_cbranch_execz .LBB10_49
.LBB10_105:
	v_mul_f32_e32 v4, v4, v3
	buffer_store_dword v4, off, s[0:3], 0 offset:136
	s_or_b64 exec, exec, s[12:13]
	s_and_saveexec_b64 s[10:11], s[8:9]
	s_cbranch_execz .LBB10_50
.LBB10_106:
	v_mul_f32_e32 v1, v1, v3
	buffer_store_dword v1, off, s[0:3], 0 offset:140
	s_or_b64 exec, exec, s[10:11]
	s_and_saveexec_b64 s[8:9], s[6:7]
	s_cbranch_execz .LBB10_51
.LBB10_107:
	v_mul_f32_e32 v1, v2, v3
	buffer_store_dword v1, off, s[0:3], 0 offset:144
	s_or_b64 exec, exec, s[8:9]
	s_and_saveexec_b64 s[6:7], s[4:5]
	s_cbranch_execnz .LBB10_52
	s_branch .LBB10_53
	.section	.rodata,"a",@progbits
	.p2align	6, 0x0
	.amdhsa_kernel _Z13topk_moe_cudaILi576ELb1EEvPKfPfPiS2_iiff15topk_moe_config
		.amdhsa_group_segment_fixed_size 0
		.amdhsa_private_segment_fixed_size 160
		.amdhsa_kernarg_size 312
		.amdhsa_user_sgpr_count 8
		.amdhsa_user_sgpr_private_segment_buffer 1
		.amdhsa_user_sgpr_dispatch_ptr 0
		.amdhsa_user_sgpr_queue_ptr 0
		.amdhsa_user_sgpr_kernarg_segment_ptr 1
		.amdhsa_user_sgpr_dispatch_id 0
		.amdhsa_user_sgpr_flat_scratch_init 1
		.amdhsa_user_sgpr_kernarg_preload_length 0
		.amdhsa_user_sgpr_kernarg_preload_offset 0
		.amdhsa_user_sgpr_private_segment_size 0
		.amdhsa_uses_dynamic_stack 0
		.amdhsa_system_sgpr_private_segment_wavefront_offset 1
		.amdhsa_system_sgpr_workgroup_id_x 1
		.amdhsa_system_sgpr_workgroup_id_y 0
		.amdhsa_system_sgpr_workgroup_id_z 0
		.amdhsa_system_sgpr_workgroup_info 0
		.amdhsa_system_vgpr_workitem_id 1
		.amdhsa_next_free_vgpr 86
		.amdhsa_next_free_sgpr 52
		.amdhsa_accum_offset 88
		.amdhsa_reserve_vcc 1
		.amdhsa_reserve_flat_scratch 0
		.amdhsa_float_round_mode_32 0
		.amdhsa_float_round_mode_16_64 0
		.amdhsa_float_denorm_mode_32 3
		.amdhsa_float_denorm_mode_16_64 3
		.amdhsa_dx10_clamp 1
		.amdhsa_ieee_mode 1
		.amdhsa_fp16_overflow 0
		.amdhsa_tg_split 0
		.amdhsa_exception_fp_ieee_invalid_op 0
		.amdhsa_exception_fp_denorm_src 0
		.amdhsa_exception_fp_ieee_div_zero 0
		.amdhsa_exception_fp_ieee_overflow 0
		.amdhsa_exception_fp_ieee_underflow 0
		.amdhsa_exception_fp_ieee_inexact 0
		.amdhsa_exception_int_div_zero 0
	.end_amdhsa_kernel
	.section	.text._Z13topk_moe_cudaILi576ELb1EEvPKfPfPiS2_iiff15topk_moe_config,"axG",@progbits,_Z13topk_moe_cudaILi576ELb1EEvPKfPfPiS2_iiff15topk_moe_config,comdat
.Lfunc_end10:
	.size	_Z13topk_moe_cudaILi576ELb1EEvPKfPfPiS2_iiff15topk_moe_config, .Lfunc_end10-_Z13topk_moe_cudaILi576ELb1EEvPKfPfPiS2_iiff15topk_moe_config
                                        ; -- End function
	.section	.AMDGPU.csdata,"",@progbits
; Kernel info:
; codeLenInByte = 12996
; NumSgprs: 56
; NumVgprs: 86
; NumAgprs: 0
; TotalNumVgprs: 86
; ScratchSize: 160
; MemoryBound: 0
; FloatMode: 240
; IeeeMode: 1
; LDSByteSize: 0 bytes/workgroup (compile time only)
; SGPRBlocks: 6
; VGPRBlocks: 10
; NumSGPRsForWavesPerEU: 56
; NumVGPRsForWavesPerEU: 86
; AccumOffset: 88
; Occupancy: 5
; WaveLimiterHint : 1
; COMPUTE_PGM_RSRC2:SCRATCH_EN: 1
; COMPUTE_PGM_RSRC2:USER_SGPR: 8
; COMPUTE_PGM_RSRC2:TRAP_HANDLER: 0
; COMPUTE_PGM_RSRC2:TGID_X_EN: 1
; COMPUTE_PGM_RSRC2:TGID_Y_EN: 0
; COMPUTE_PGM_RSRC2:TGID_Z_EN: 0
; COMPUTE_PGM_RSRC2:TIDIG_COMP_CNT: 1
; COMPUTE_PGM_RSRC3_GFX90A:ACCUM_OFFSET: 21
; COMPUTE_PGM_RSRC3_GFX90A:TG_SPLIT: 0
	.section	.text._Z13topk_moe_cudaILi1ELb0EEvPKfPfPiS2_iiff15topk_moe_config,"axG",@progbits,_Z13topk_moe_cudaILi1ELb0EEvPKfPfPiS2_iiff15topk_moe_config,comdat
	.protected	_Z13topk_moe_cudaILi1ELb0EEvPKfPfPiS2_iiff15topk_moe_config ; -- Begin function _Z13topk_moe_cudaILi1ELb0EEvPKfPfPiS2_iiff15topk_moe_config
	.globl	_Z13topk_moe_cudaILi1ELb0EEvPKfPfPiS2_iiff15topk_moe_config
	.p2align	8
	.type	_Z13topk_moe_cudaILi1ELb0EEvPKfPfPiS2_iiff15topk_moe_config,@function
_Z13topk_moe_cudaILi1ELb0EEvPKfPfPiS2_iiff15topk_moe_config: ; @_Z13topk_moe_cudaILi1ELb0EEvPKfPfPiS2_iiff15topk_moe_config
; %bb.0:
	s_load_dword s0, s[4:5], 0x44
	s_load_dwordx4 s[8:11], s[4:5], 0x20
	v_bfe_u32 v1, v0, 10, 10
	s_waitcnt lgkmcnt(0)
	s_lshr_b32 s0, s0, 16
	s_mul_i32 s6, s6, s0
	v_add_u32_e32 v2, s6, v1
	v_cmp_gt_i32_e32 vcc, s8, v2
	s_and_saveexec_b64 s[0:1], vcc
	s_cbranch_execz .LBB11_41
; %bb.1:
	v_mov_b32_e32 v1, 0
	global_load_ushort v5, v1, s[4:5] offset:48
	global_load_ubyte v6, v1, s[4:5] offset:50
	v_mov_b32_e32 v1, 8
	s_load_dwordx4 s[0:3], s[4:5], 0x0
	s_load_dwordx2 s[12:13], s[4:5], 0x10
	v_and_b32_e32 v4, 0x3ff, v0
	v_ashrrev_i32_e32 v3, 31, v2
	v_mov_b32_e32 v7, 0xff800000
	v_cmp_eq_u32_e32 vcc, 0, v4
	s_waitcnt vmcnt(1)
	v_lshrrev_b32_sdwa v0, v1, v5 dst_sel:BYTE_1 dst_unused:UNUSED_PAD src0_sel:DWORD src1_sel:DWORD
	v_or_b32_sdwa v0, v5, v0 dst_sel:DWORD dst_unused:UNUSED_PAD src0_sel:BYTE_0 src1_sel:DWORD
	s_waitcnt vmcnt(0)
	v_readfirstlane_b32 s4, v6
	v_readfirstlane_b32 s5, v0
	s_lshl_b32 s4, s4, 16
	s_and_b32 s5, 0xffff, s5
	s_or_b32 s6, s5, s4
	v_lshlrev_b64 v[0:1], 2, v[2:3]
	s_and_saveexec_b64 s[4:5], vcc
	s_cbranch_execz .LBB11_3
; %bb.2:
	s_waitcnt lgkmcnt(0)
	v_mov_b32_e32 v3, s1
	v_add_co_u32_e32 v6, vcc, s0, v0
	v_addc_co_u32_e32 v7, vcc, v3, v1, vcc
	global_load_dword v7, v[6:7], off
.LBB11_3:
	s_or_b64 exec, exec, s[4:5]
	s_bitcmp1_b32 s6, 16
	s_cselect_b64 s[4:5], -1, 0
	s_and_b64 vcc, exec, s[4:5]
	s_cbranch_vccnz .LBB11_9
; %bb.4:
	s_bitcmp0_b32 s6, 0
	s_cbranch_scc0 .LBB11_6
; %bb.5:
	v_mbcnt_lo_u32_b32 v5, -1, 0
	v_mbcnt_hi_u32_b32 v5, -1, v5
	v_and_b32_e32 v6, 0x60, v5
	v_add_u32_e32 v6, 32, v6
	v_xor_b32_e32 v8, 16, v5
	v_cmp_lt_i32_e32 vcc, v8, v6
	s_waitcnt vmcnt(0)
	v_max_f32_e32 v3, v7, v7
	v_cndmask_b32_e32 v8, v5, v8, vcc
	v_max_f32_e32 v3, 0xff800000, v3
	v_lshlrev_b32_e32 v8, 2, v8
	ds_bpermute_b32 v9, v8, v3
	s_waitcnt lgkmcnt(0)
	s_mov_b32 s0, 0x3fb8aa3b
	v_max_f32_e32 v9, v9, v9
	v_max_f32_e32 v3, v3, v9
	v_xor_b32_e32 v9, 8, v5
	v_cmp_lt_i32_e32 vcc, v9, v6
	v_cndmask_b32_e32 v9, v5, v9, vcc
	v_lshlrev_b32_e32 v9, 2, v9
	ds_bpermute_b32 v10, v9, v3
	s_waitcnt lgkmcnt(0)
	v_max_f32_e32 v10, v10, v10
	v_max_f32_e32 v3, v3, v10
	v_xor_b32_e32 v10, 4, v5
	v_cmp_lt_i32_e32 vcc, v10, v6
	v_cndmask_b32_e32 v10, v5, v10, vcc
	v_lshlrev_b32_e32 v10, 2, v10
	ds_bpermute_b32 v11, v10, v3
	s_waitcnt lgkmcnt(0)
	v_max_f32_e32 v11, v11, v11
	v_max_f32_e32 v3, v3, v11
	v_xor_b32_e32 v11, 2, v5
	v_cmp_lt_i32_e32 vcc, v11, v6
	v_cndmask_b32_e32 v11, v5, v11, vcc
	v_lshlrev_b32_e32 v11, 2, v11
	ds_bpermute_b32 v12, v11, v3
	s_waitcnt lgkmcnt(0)
	v_max_f32_e32 v12, v12, v12
	v_max_f32_e32 v3, v3, v12
	v_xor_b32_e32 v12, 1, v5
	v_cmp_lt_i32_e32 vcc, v12, v6
	v_cndmask_b32_e32 v5, v5, v12, vcc
	v_lshlrev_b32_e32 v5, 2, v5
	ds_bpermute_b32 v6, v5, v3
	s_waitcnt lgkmcnt(0)
	v_max_f32_e32 v6, v6, v6
	v_max_f32_e32 v3, v3, v6
	v_sub_f32_e32 v3, v7, v3
	v_mul_f32_e32 v6, 0x3fb8aa3b, v3
	v_fma_f32 v12, v3, s0, -v6
	v_rndne_f32_e32 v13, v6
	v_fmac_f32_e32 v12, 0x32a5705f, v3
	v_sub_f32_e32 v6, v6, v13
	v_add_f32_e32 v6, v6, v12
	v_exp_f32_e32 v6, v6
	v_cvt_i32_f32_e32 v12, v13
	s_mov_b32 s0, 0xc2ce8ed0
	v_cmp_ngt_f32_e32 vcc, s0, v3
	s_mov_b32 s0, 0x42b17218
	v_ldexp_f32 v6, v6, v12
	v_cndmask_b32_e32 v6, 0, v6, vcc
	v_mov_b32_e32 v12, 0x7f800000
	v_cmp_nlt_f32_e32 vcc, s0, v3
	v_cndmask_b32_e32 v3, v12, v6, vcc
	ds_bpermute_b32 v6, v8, v3
	s_waitcnt lgkmcnt(0)
	v_add_f32_e32 v6, v3, v6
	ds_bpermute_b32 v8, v9, v6
	s_waitcnt lgkmcnt(0)
	v_add_f32_e32 v6, v6, v8
	ds_bpermute_b32 v8, v10, v6
	s_waitcnt lgkmcnt(0)
	v_add_f32_e32 v6, v6, v8
	ds_bpermute_b32 v8, v11, v6
	s_waitcnt lgkmcnt(0)
	v_add_f32_e32 v6, v6, v8
	ds_bpermute_b32 v5, v5, v6
	s_waitcnt lgkmcnt(0)
	v_add_f32_e32 v5, v6, v5
	v_div_scale_f32 v6, s[0:1], v5, v5, 1.0
	v_rcp_f32_e32 v8, v6
	v_div_scale_f32 v9, vcc, 1.0, v5, 1.0
	v_fma_f32 v10, -v6, v8, 1.0
	v_fmac_f32_e32 v8, v10, v8
	v_mul_f32_e32 v10, v9, v8
	v_fma_f32 v11, -v6, v10, v9
	v_fmac_f32_e32 v10, v11, v8
	v_fma_f32 v6, -v6, v10, v9
	v_div_fmas_f32 v6, v6, v8, v10
	v_div_fixup_f32 v5, v6, v5, 1.0
	v_mul_f32_e32 v3, v3, v5
	s_cbranch_execz .LBB11_7
	s_branch .LBB11_8
.LBB11_6:
	s_waitcnt lgkmcnt(0)
                                        ; implicit-def: $vgpr3
.LBB11_7:
	s_waitcnt vmcnt(0)
	v_mul_f32_e32 v3, 0xbfb8aa3b, v7
	s_mov_b32 s0, 0xbfb8aa3b
	v_rndne_f32_e32 v5, v3
	v_sub_f32_e32 v6, v3, v5
	v_fma_f32 v3, v7, s0, -v3
	v_fmac_f32_e32 v3, 0xb2a5705f, v7
	v_add_f32_e32 v3, v6, v3
	v_exp_f32_e32 v3, v3
	v_cvt_i32_f32_e32 v5, v5
	s_mov_b32 s0, 0x42ce8ed0
	v_cmp_nlt_f32_e32 vcc, s0, v7
	s_mov_b32 s0, 0xc2b17218
	v_ldexp_f32 v3, v3, v5
	v_cndmask_b32_e32 v3, 0, v3, vcc
	v_mov_b32_e32 v5, 0x7f800000
	v_cmp_ngt_f32_e32 vcc, s0, v7
	v_cndmask_b32_e32 v3, v5, v3, vcc
	v_add_f32_e32 v3, 1.0, v3
	v_div_scale_f32 v5, s[0:1], v3, v3, 1.0
	v_rcp_f32_e32 v6, v5
	v_fma_f32 v7, -v5, v6, 1.0
	v_fmac_f32_e32 v6, v7, v6
	v_div_scale_f32 v7, vcc, 1.0, v3, 1.0
	v_mul_f32_e32 v8, v7, v6
	v_fma_f32 v9, -v5, v8, v7
	v_fmac_f32_e32 v8, v9, v6
	v_fma_f32 v5, -v5, v8, v7
	v_div_fmas_f32 v5, v5, v6, v8
	v_div_fixup_f32 v3, v5, v3, 1.0
.LBB11_8:
	s_waitcnt vmcnt(0)
	v_mov_b32_e32 v7, v3
.LBB11_9:
	s_lshr_b32 s14, s6, 8
	s_cmp_gt_i32 s9, 0
	s_mov_b32 s8, 0
	s_cbranch_scc1 .LBB11_11
; %bb.10:
	s_bitcmp1_b32 s14, 0
	s_waitcnt lgkmcnt(0)
	s_mov_b64 s[0:1], 0
	s_cselect_b64 s[6:7], -1, 0
	s_branch .LBB11_12
.LBB11_11:
	s_waitcnt lgkmcnt(0)
	s_mov_b64 s[0:1], -1
                                        ; implicit-def: $sgpr8
                                        ; implicit-def: $sgpr6_sgpr7
.LBB11_12:
	s_andn2_b64 vcc, exec, s[0:1]
	v_mov_b32_e32 v6, s8
	v_mbcnt_lo_u32_b32 v5, -1, 0
	v_mov_b32_e32 v3, s8
	s_cbranch_vccnz .LBB11_37
; %bb.13:
	v_mov_b32_e32 v3, s13
	v_add_co_u32_e32 v0, vcc, s12, v0
	v_addc_co_u32_e32 v1, vcc, v3, v1, vcc
	v_mov_b32_e32 v3, 0xff7fffff
	s_waitcnt vmcnt(0)
	v_cmp_o_f32_e32 vcc, v7, v7
	v_cndmask_b32_e32 v7, v3, v7, vcc
	v_mbcnt_hi_u32_b32 v3, -1, v5
	v_and_b32_e32 v6, 0x60, v3
	v_add_u32_e32 v6, 32, v6
	v_xor_b32_e32 v8, 16, v3
	v_cmp_lt_i32_e32 vcc, v8, v6
	v_xor_b32_e32 v9, 8, v3
	v_cndmask_b32_e32 v8, v3, v8, vcc
	v_cmp_lt_i32_e32 vcc, v9, v6
	v_xor_b32_e32 v10, 4, v3
	v_cndmask_b32_e32 v9, v3, v9, vcc
	;; [unrolled: 3-line block ×4, first 2 shown]
	v_cmp_lt_i32_e32 vcc, v12, v6
	s_bitcmp1_b32 s14, 0
	v_cndmask_b32_e32 v3, v3, v12, vcc
	s_mov_b32 s8, 0
	s_cselect_b64 s[6:7], -1, 0
	v_lshlrev_b32_e32 v8, 2, v8
	v_lshlrev_b32_e32 v9, 2, v9
	;; [unrolled: 1-line block ×5, first 2 shown]
	v_mov_b32_e32 v6, 0
	v_mov_b32_e32 v13, 0xff800000
	;; [unrolled: 1-line block ×3, first 2 shown]
	s_branch .LBB11_15
.LBB11_14:                              ;   in Loop: Header=BB11_15 Depth=1
	s_or_b64 exec, exec, s[0:1]
	s_and_b32 s0, s8, 31
	v_cndmask_b32_e32 v7, v7, v13, vcc
	v_cmp_eq_u32_e32 vcc, s0, v4
	v_cndmask_b32_e32 v3, v3, v14, vcc
	s_add_i32 s8, s8, 1
	v_add_co_u32_e32 v0, vcc, 4, v0
	s_cmp_eq_u32 s9, s8
	v_addc_co_u32_e32 v1, vcc, 0, v1, vcc
	s_cbranch_scc1 .LBB11_37
.LBB11_15:                              ; =>This Inner Loop Header: Depth=1
	s_waitcnt lgkmcnt(0)
	ds_bpermute_b32 v17, v8, v7
	ds_bpermute_b32 v18, v8, v4
                                        ; implicit-def: $vgpr16
	s_waitcnt lgkmcnt(1)
	v_cmp_lt_f32_e64 s[12:13], v7, v17
	v_cmp_nlt_f32_e32 vcc, v7, v17
	s_and_saveexec_b64 s[14:15], vcc
	s_cbranch_execz .LBB11_17
; %bb.16:                               ;   in Loop: Header=BB11_15 Depth=1
	v_cmp_eq_f32_e32 vcc, v7, v17
	s_waitcnt lgkmcnt(0)
	v_cmp_lt_i32_e64 s[0:1], v18, v4
	s_and_b64 s[0:1], vcc, s[0:1]
	s_andn2_b64 s[12:13], s[12:13], exec
	s_and_b64 s[0:1], s[0:1], exec
	s_or_b64 s[12:13], s[12:13], s[0:1]
	v_mov_b32_e32 v16, v7
.LBB11_17:                              ;   in Loop: Header=BB11_15 Depth=1
	s_or_b64 exec, exec, s[14:15]
	v_mov_b32_e32 v14, v7
	v_mov_b32_e32 v15, v4
	s_and_saveexec_b64 s[0:1], s[12:13]
	s_cbranch_execz .LBB11_19
; %bb.18:                               ;   in Loop: Header=BB11_15 Depth=1
	v_mov_b32_e32 v16, v17
	v_mov_b32_e32 v14, v17
	s_waitcnt lgkmcnt(0)
	v_mov_b32_e32 v15, v18
.LBB11_19:                              ;   in Loop: Header=BB11_15 Depth=1
	s_or_b64 exec, exec, s[0:1]
	ds_bpermute_b32 v17, v9, v16
	s_waitcnt lgkmcnt(1)
	ds_bpermute_b32 v18, v9, v15
	s_waitcnt lgkmcnt(1)
	v_cmp_lt_f32_e64 s[12:13], v14, v17
	v_cmp_nlt_f32_e32 vcc, v14, v17
	s_and_saveexec_b64 s[14:15], vcc
	s_cbranch_execz .LBB11_21
; %bb.20:                               ;   in Loop: Header=BB11_15 Depth=1
	v_cmp_eq_f32_e32 vcc, v14, v17
	s_waitcnt lgkmcnt(0)
	v_cmp_lt_i32_e64 s[0:1], v18, v15
	s_and_b64 s[0:1], vcc, s[0:1]
	s_andn2_b64 s[12:13], s[12:13], exec
	s_and_b64 s[0:1], s[0:1], exec
	s_or_b64 s[12:13], s[12:13], s[0:1]
.LBB11_21:                              ;   in Loop: Header=BB11_15 Depth=1
	s_or_b64 exec, exec, s[14:15]
	s_and_saveexec_b64 s[0:1], s[12:13]
	s_cbranch_execz .LBB11_23
; %bb.22:                               ;   in Loop: Header=BB11_15 Depth=1
	v_mov_b32_e32 v16, v17
	v_mov_b32_e32 v14, v17
	s_waitcnt lgkmcnt(0)
	v_mov_b32_e32 v15, v18
.LBB11_23:                              ;   in Loop: Header=BB11_15 Depth=1
	s_or_b64 exec, exec, s[0:1]
	ds_bpermute_b32 v17, v10, v16
	s_waitcnt lgkmcnt(1)
	ds_bpermute_b32 v18, v10, v15
	s_waitcnt lgkmcnt(1)
	v_cmp_lt_f32_e64 s[12:13], v14, v17
	v_cmp_nlt_f32_e32 vcc, v14, v17
	s_and_saveexec_b64 s[14:15], vcc
	s_cbranch_execz .LBB11_25
; %bb.24:                               ;   in Loop: Header=BB11_15 Depth=1
	v_cmp_eq_f32_e32 vcc, v14, v17
	s_waitcnt lgkmcnt(0)
	v_cmp_lt_i32_e64 s[0:1], v18, v15
	s_and_b64 s[0:1], vcc, s[0:1]
	s_andn2_b64 s[12:13], s[12:13], exec
	s_and_b64 s[0:1], s[0:1], exec
	s_or_b64 s[12:13], s[12:13], s[0:1]
.LBB11_25:                              ;   in Loop: Header=BB11_15 Depth=1
	s_or_b64 exec, exec, s[14:15]
	s_and_saveexec_b64 s[0:1], s[12:13]
	s_cbranch_execz .LBB11_27
; %bb.26:                               ;   in Loop: Header=BB11_15 Depth=1
	v_mov_b32_e32 v16, v17
	v_mov_b32_e32 v14, v17
	s_waitcnt lgkmcnt(0)
	v_mov_b32_e32 v15, v18
.LBB11_27:                              ;   in Loop: Header=BB11_15 Depth=1
	s_or_b64 exec, exec, s[0:1]
	ds_bpermute_b32 v17, v11, v16
	s_waitcnt lgkmcnt(1)
	ds_bpermute_b32 v18, v11, v15
	s_waitcnt lgkmcnt(1)
	v_cmp_lt_f32_e64 s[12:13], v14, v17
	v_cmp_nlt_f32_e32 vcc, v14, v17
	s_and_saveexec_b64 s[14:15], vcc
	s_cbranch_execz .LBB11_29
; %bb.28:                               ;   in Loop: Header=BB11_15 Depth=1
	v_cmp_eq_f32_e32 vcc, v14, v17
	s_waitcnt lgkmcnt(0)
	v_cmp_lt_i32_e64 s[0:1], v18, v15
	s_and_b64 s[0:1], vcc, s[0:1]
	s_andn2_b64 s[12:13], s[12:13], exec
	s_and_b64 s[0:1], s[0:1], exec
	s_or_b64 s[12:13], s[12:13], s[0:1]
.LBB11_29:                              ;   in Loop: Header=BB11_15 Depth=1
	s_or_b64 exec, exec, s[14:15]
	s_and_saveexec_b64 s[0:1], s[12:13]
	s_cbranch_execz .LBB11_31
; %bb.30:                               ;   in Loop: Header=BB11_15 Depth=1
	v_mov_b32_e32 v16, v17
	v_mov_b32_e32 v14, v17
	s_waitcnt lgkmcnt(0)
	v_mov_b32_e32 v15, v18
.LBB11_31:                              ;   in Loop: Header=BB11_15 Depth=1
	s_or_b64 exec, exec, s[0:1]
	ds_bpermute_b32 v16, v12, v16
	ds_bpermute_b32 v17, v12, v15
	s_waitcnt lgkmcnt(1)
	v_cmp_lt_f32_e64 s[12:13], v14, v16
	v_cmp_nlt_f32_e32 vcc, v14, v16
	s_and_saveexec_b64 s[14:15], vcc
	s_cbranch_execz .LBB11_33
; %bb.32:                               ;   in Loop: Header=BB11_15 Depth=1
	v_cmp_eq_f32_e32 vcc, v14, v16
	s_waitcnt lgkmcnt(0)
	v_cmp_lt_i32_e64 s[0:1], v17, v15
	s_and_b64 s[0:1], vcc, s[0:1]
	s_andn2_b64 s[12:13], s[12:13], exec
	s_and_b64 s[0:1], s[0:1], exec
	s_or_b64 s[12:13], s[12:13], s[0:1]
.LBB11_33:                              ;   in Loop: Header=BB11_15 Depth=1
	s_or_b64 exec, exec, s[14:15]
	s_and_saveexec_b64 s[0:1], s[12:13]
	s_cbranch_execz .LBB11_35
; %bb.34:                               ;   in Loop: Header=BB11_15 Depth=1
	v_mov_b32_e32 v14, v16
	s_waitcnt lgkmcnt(0)
	v_mov_b32_e32 v15, v17
.LBB11_35:                              ;   in Loop: Header=BB11_15 Depth=1
	s_or_b64 exec, exec, s[0:1]
	v_and_b32_e32 v16, 31, v15
	v_cmp_eq_u32_e32 vcc, v16, v4
	s_and_saveexec_b64 s[0:1], vcc
	s_cbranch_execz .LBB11_14
; %bb.36:                               ;   in Loop: Header=BB11_15 Depth=1
	v_add_f32_e32 v16, v6, v14
	v_cndmask_b32_e64 v6, v6, v16, s[6:7]
	global_store_dword v[0:1], v15, off
	s_branch .LBB11_14
.LBB11_37:
	s_and_b64 vcc, exec, s[6:7]
	s_cbranch_vccnz .LBB11_42
; %bb.38:
	s_andn2_b64 vcc, exec, s[4:5]
	v_cmp_gt_i32_e64 s[0:1], s9, v4
	s_cbranch_vccz .LBB11_43
.LBB11_39:
	v_cmp_gt_i32_e32 vcc, s9, v4
	s_and_b64 exec, exec, vcc
	s_cbranch_execz .LBB11_41
.LBB11_40:
	v_mul_lo_u32 v0, v2, s9
	v_ashrrev_i32_e32 v1, 31, v0
	v_lshlrev_b64 v[0:1], 2, v[0:1]
	v_mov_b32_e32 v2, s3
	v_add_co_u32_e32 v0, vcc, s2, v0
	v_addc_co_u32_e32 v1, vcc, v2, v1, vcc
	v_lshlrev_b32_e32 v2, 2, v4
	v_add_co_u32_e32 v0, vcc, v0, v2
	v_addc_co_u32_e32 v1, vcc, 0, v1, vcc
	v_mul_f32_e32 v2, s11, v3
	global_store_dword v[0:1], v2, off
.LBB11_41:
	s_endpgm
.LBB11_42:
	v_mbcnt_hi_u32_b32 v0, -1, v5
	v_and_b32_e32 v1, 0x60, v0
	v_add_u32_e32 v1, 32, v1
	s_waitcnt vmcnt(0)
	v_xor_b32_e32 v7, 16, v0
	v_cmp_lt_i32_e32 vcc, v7, v1
	v_cndmask_b32_e32 v7, v0, v7, vcc
	v_lshlrev_b32_e32 v7, 2, v7
	ds_bpermute_b32 v7, v7, v6
	v_xor_b32_e32 v8, 8, v0
	v_cmp_lt_i32_e32 vcc, v8, v1
	s_waitcnt lgkmcnt(0)
	v_add_f32_e32 v6, v6, v7
	v_cndmask_b32_e32 v7, v0, v8, vcc
	v_lshlrev_b32_e32 v7, 2, v7
	ds_bpermute_b32 v7, v7, v6
	v_xor_b32_e32 v8, 4, v0
	v_cmp_lt_i32_e32 vcc, v8, v1
	s_waitcnt lgkmcnt(0)
	v_add_f32_e32 v6, v6, v7
	;; [unrolled: 7-line block ×3, first 2 shown]
	v_cndmask_b32_e32 v7, v0, v8, vcc
	v_lshlrev_b32_e32 v7, 2, v7
	ds_bpermute_b32 v7, v7, v6
	v_xor_b32_e32 v8, 1, v0
	v_cmp_lt_i32_e32 vcc, v8, v1
	v_cndmask_b32_e32 v0, v0, v8, vcc
	v_lshlrev_b32_e32 v0, 2, v0
	s_waitcnt lgkmcnt(0)
	v_add_f32_e32 v6, v6, v7
	ds_bpermute_b32 v0, v0, v6
	v_max_f32_e64 v1, s10, s10
	s_waitcnt lgkmcnt(0)
	v_add_f32_e32 v0, v6, v0
	v_max_f32_e32 v0, v0, v1
	v_div_scale_f32 v1, s[0:1], v0, v0, 1.0
	v_rcp_f32_e32 v6, v1
	v_div_scale_f32 v7, vcc, 1.0, v0, 1.0
	v_fma_f32 v8, -v1, v6, 1.0
	v_fmac_f32_e32 v6, v8, v6
	v_mul_f32_e32 v8, v7, v6
	v_fma_f32 v9, -v1, v8, v7
	v_fmac_f32_e32 v8, v9, v6
	v_fma_f32 v1, -v1, v8, v7
	v_div_fmas_f32 v1, v1, v6, v8
	v_div_fixup_f32 v0, v1, v0, 1.0
	v_mul_f32_e32 v3, v3, v0
	s_andn2_b64 vcc, exec, s[4:5]
	v_cmp_gt_i32_e64 s[0:1], s9, v4
	s_cbranch_vccnz .LBB11_39
.LBB11_43:
	v_max_f32_e32 v0, v3, v3
	v_max_f32_e32 v0, 0xff800000, v0
	v_mov_b32_e32 v1, 0xff800000
	v_cndmask_b32_e64 v0, v1, v0, s[0:1]
	v_mbcnt_hi_u32_b32 v1, -1, v5
	v_and_b32_e32 v5, 0x60, v1
	v_add_u32_e32 v5, 32, v5
	v_xor_b32_e32 v6, 16, v1
	v_cmp_lt_i32_e32 vcc, v6, v5
	v_cndmask_b32_e32 v6, v1, v6, vcc
	v_lshlrev_b32_e32 v6, 2, v6
	s_waitcnt vmcnt(0)
	ds_bpermute_b32 v7, v6, v0
	s_mov_b32 s4, 0x3fb8aa3b
	s_waitcnt lgkmcnt(0)
	v_max_f32_e32 v7, v7, v7
	v_max_f32_e32 v0, v0, v7
	v_xor_b32_e32 v7, 8, v1
	v_cmp_lt_i32_e32 vcc, v7, v5
	v_cndmask_b32_e32 v7, v1, v7, vcc
	v_lshlrev_b32_e32 v7, 2, v7
	ds_bpermute_b32 v8, v7, v0
	s_waitcnt lgkmcnt(0)
	v_max_f32_e32 v8, v8, v8
	v_max_f32_e32 v0, v0, v8
	v_xor_b32_e32 v8, 4, v1
	v_cmp_lt_i32_e32 vcc, v8, v5
	v_cndmask_b32_e32 v8, v1, v8, vcc
	v_lshlrev_b32_e32 v8, 2, v8
	ds_bpermute_b32 v9, v8, v0
	;; [unrolled: 8-line block ×4, first 2 shown]
	s_waitcnt lgkmcnt(0)
	v_max_f32_e32 v1, v1, v1
	v_max_f32_e32 v0, v0, v1
	v_sub_f32_e32 v0, v3, v0
	v_mul_f32_e32 v1, 0x3fb8aa3b, v0
	v_fma_f32 v3, v0, s4, -v1
	v_rndne_f32_e32 v10, v1
	v_fmac_f32_e32 v3, 0x32a5705f, v0
	v_sub_f32_e32 v1, v1, v10
	v_add_f32_e32 v1, v1, v3
	v_exp_f32_e32 v1, v1
	v_cvt_i32_f32_e32 v3, v10
	s_mov_b32 s4, 0xc2ce8ed0
	v_cmp_ngt_f32_e32 vcc, s4, v0
	s_mov_b32 s4, 0x42b17218
	v_ldexp_f32 v1, v1, v3
	v_cndmask_b32_e32 v1, 0, v1, vcc
	v_mov_b32_e32 v3, 0x7f800000
	v_cmp_nlt_f32_e32 vcc, s4, v0
	v_cndmask_b32_e32 v0, v3, v1, vcc
	v_cndmask_b32_e64 v1, 0, v0, s[0:1]
	ds_bpermute_b32 v3, v6, v1
	s_waitcnt lgkmcnt(0)
	v_add_f32_e32 v1, v1, v3
	ds_bpermute_b32 v3, v7, v1
	s_waitcnt lgkmcnt(0)
	v_add_f32_e32 v1, v1, v3
	;; [unrolled: 3-line block ×4, first 2 shown]
	ds_bpermute_b32 v5, v5, v1
	v_mov_b32_e32 v3, 0
	s_and_saveexec_b64 s[4:5], s[0:1]
	s_cbranch_execz .LBB11_45
; %bb.44:
	s_waitcnt lgkmcnt(0)
	v_add_f32_e32 v1, v1, v5
	v_div_scale_f32 v3, s[0:1], v1, v1, 1.0
	v_rcp_f32_e32 v5, v3
	v_div_scale_f32 v6, vcc, 1.0, v1, 1.0
	v_fma_f32 v7, -v3, v5, 1.0
	v_fmac_f32_e32 v5, v7, v5
	v_mul_f32_e32 v7, v6, v5
	v_fma_f32 v8, -v3, v7, v6
	v_fmac_f32_e32 v7, v8, v5
	v_fma_f32 v3, -v3, v7, v6
	v_div_fmas_f32 v3, v3, v5, v7
	v_div_fixup_f32 v1, v3, v1, 1.0
	v_mul_f32_e32 v3, v0, v1
.LBB11_45:
	s_or_b64 exec, exec, s[4:5]
	v_cmp_gt_i32_e32 vcc, s9, v4
	s_and_b64 exec, exec, vcc
	s_cbranch_execnz .LBB11_40
	s_branch .LBB11_41
	.section	.rodata,"a",@progbits
	.p2align	6, 0x0
	.amdhsa_kernel _Z13topk_moe_cudaILi1ELb0EEvPKfPfPiS2_iiff15topk_moe_config
		.amdhsa_group_segment_fixed_size 0
		.amdhsa_private_segment_fixed_size 0
		.amdhsa_kernarg_size 312
		.amdhsa_user_sgpr_count 6
		.amdhsa_user_sgpr_private_segment_buffer 1
		.amdhsa_user_sgpr_dispatch_ptr 0
		.amdhsa_user_sgpr_queue_ptr 0
		.amdhsa_user_sgpr_kernarg_segment_ptr 1
		.amdhsa_user_sgpr_dispatch_id 0
		.amdhsa_user_sgpr_flat_scratch_init 0
		.amdhsa_user_sgpr_kernarg_preload_length 0
		.amdhsa_user_sgpr_kernarg_preload_offset 0
		.amdhsa_user_sgpr_private_segment_size 0
		.amdhsa_uses_dynamic_stack 0
		.amdhsa_system_sgpr_private_segment_wavefront_offset 0
		.amdhsa_system_sgpr_workgroup_id_x 1
		.amdhsa_system_sgpr_workgroup_id_y 0
		.amdhsa_system_sgpr_workgroup_id_z 0
		.amdhsa_system_sgpr_workgroup_info 0
		.amdhsa_system_vgpr_workitem_id 1
		.amdhsa_next_free_vgpr 19
		.amdhsa_next_free_sgpr 16
		.amdhsa_accum_offset 20
		.amdhsa_reserve_vcc 1
		.amdhsa_reserve_flat_scratch 0
		.amdhsa_float_round_mode_32 0
		.amdhsa_float_round_mode_16_64 0
		.amdhsa_float_denorm_mode_32 3
		.amdhsa_float_denorm_mode_16_64 3
		.amdhsa_dx10_clamp 1
		.amdhsa_ieee_mode 1
		.amdhsa_fp16_overflow 0
		.amdhsa_tg_split 0
		.amdhsa_exception_fp_ieee_invalid_op 0
		.amdhsa_exception_fp_denorm_src 0
		.amdhsa_exception_fp_ieee_div_zero 0
		.amdhsa_exception_fp_ieee_overflow 0
		.amdhsa_exception_fp_ieee_underflow 0
		.amdhsa_exception_fp_ieee_inexact 0
		.amdhsa_exception_int_div_zero 0
	.end_amdhsa_kernel
	.section	.text._Z13topk_moe_cudaILi1ELb0EEvPKfPfPiS2_iiff15topk_moe_config,"axG",@progbits,_Z13topk_moe_cudaILi1ELb0EEvPKfPfPiS2_iiff15topk_moe_config,comdat
.Lfunc_end11:
	.size	_Z13topk_moe_cudaILi1ELb0EEvPKfPfPiS2_iiff15topk_moe_config, .Lfunc_end11-_Z13topk_moe_cudaILi1ELb0EEvPKfPfPiS2_iiff15topk_moe_config
                                        ; -- End function
	.section	.AMDGPU.csdata,"",@progbits
; Kernel info:
; codeLenInByte = 2688
; NumSgprs: 20
; NumVgprs: 19
; NumAgprs: 0
; TotalNumVgprs: 19
; ScratchSize: 0
; MemoryBound: 0
; FloatMode: 240
; IeeeMode: 1
; LDSByteSize: 0 bytes/workgroup (compile time only)
; SGPRBlocks: 2
; VGPRBlocks: 2
; NumSGPRsForWavesPerEU: 20
; NumVGPRsForWavesPerEU: 19
; AccumOffset: 20
; Occupancy: 8
; WaveLimiterHint : 0
; COMPUTE_PGM_RSRC2:SCRATCH_EN: 0
; COMPUTE_PGM_RSRC2:USER_SGPR: 6
; COMPUTE_PGM_RSRC2:TRAP_HANDLER: 0
; COMPUTE_PGM_RSRC2:TGID_X_EN: 1
; COMPUTE_PGM_RSRC2:TGID_Y_EN: 0
; COMPUTE_PGM_RSRC2:TGID_Z_EN: 0
; COMPUTE_PGM_RSRC2:TIDIG_COMP_CNT: 1
; COMPUTE_PGM_RSRC3_GFX90A:ACCUM_OFFSET: 4
; COMPUTE_PGM_RSRC3_GFX90A:TG_SPLIT: 0
	.section	.text._Z13topk_moe_cudaILi2ELb0EEvPKfPfPiS2_iiff15topk_moe_config,"axG",@progbits,_Z13topk_moe_cudaILi2ELb0EEvPKfPfPiS2_iiff15topk_moe_config,comdat
	.protected	_Z13topk_moe_cudaILi2ELb0EEvPKfPfPiS2_iiff15topk_moe_config ; -- Begin function _Z13topk_moe_cudaILi2ELb0EEvPKfPfPiS2_iiff15topk_moe_config
	.globl	_Z13topk_moe_cudaILi2ELb0EEvPKfPfPiS2_iiff15topk_moe_config
	.p2align	8
	.type	_Z13topk_moe_cudaILi2ELb0EEvPKfPfPiS2_iiff15topk_moe_config,@function
_Z13topk_moe_cudaILi2ELb0EEvPKfPfPiS2_iiff15topk_moe_config: ; @_Z13topk_moe_cudaILi2ELb0EEvPKfPfPiS2_iiff15topk_moe_config
; %bb.0:
	s_load_dword s0, s[4:5], 0x44
	s_load_dwordx4 s[8:11], s[4:5], 0x20
	v_bfe_u32 v1, v0, 10, 10
	s_waitcnt lgkmcnt(0)
	s_lshr_b32 s0, s0, 16
	s_mul_i32 s6, s6, s0
	v_add_u32_e32 v2, s6, v1
	v_cmp_gt_i32_e32 vcc, s8, v2
	s_and_saveexec_b64 s[0:1], vcc
	s_cbranch_execz .LBB12_41
; %bb.1:
	v_mov_b32_e32 v1, 0
	global_load_ushort v3, v1, s[4:5] offset:48
	global_load_ubyte v5, v1, s[4:5] offset:50
	v_lshlrev_b32_e32 v6, 1, v2
	v_mov_b32_e32 v9, 8
	v_ashrrev_i32_e32 v7, 31, v6
	s_load_dwordx4 s[0:3], s[4:5], 0x0
	s_load_dwordx2 s[12:13], s[4:5], 0x10
	v_and_b32_e32 v4, 0x3ff, v0
	v_lshlrev_b64 v[0:1], 2, v[6:7]
	v_mov_b32_e32 v8, 0xff800000
	v_cmp_gt_u32_e32 vcc, 2, v4
	s_waitcnt vmcnt(1)
	v_lshrrev_b32_sdwa v6, v9, v3 dst_sel:BYTE_1 dst_unused:UNUSED_PAD src0_sel:DWORD src1_sel:DWORD
	v_or_b32_sdwa v3, v3, v6 dst_sel:DWORD dst_unused:UNUSED_PAD src0_sel:BYTE_0 src1_sel:DWORD
	s_waitcnt vmcnt(0)
	v_readfirstlane_b32 s4, v5
	v_readfirstlane_b32 s5, v3
	s_lshl_b32 s4, s4, 16
	s_and_b32 s5, 0xffff, s5
	s_or_b32 s6, s5, s4
	v_lshlrev_b32_e32 v3, 2, v4
	s_and_saveexec_b64 s[4:5], vcc
	s_cbranch_execz .LBB12_3
; %bb.2:
	s_waitcnt lgkmcnt(0)
	v_mov_b32_e32 v5, s1
	v_add_co_u32_e32 v6, vcc, s0, v0
	v_addc_co_u32_e32 v5, vcc, v5, v1, vcc
	v_add_co_u32_e32 v6, vcc, v6, v3
	v_addc_co_u32_e32 v7, vcc, 0, v5, vcc
	global_load_dword v8, v[6:7], off
.LBB12_3:
	s_or_b64 exec, exec, s[4:5]
	s_bitcmp1_b32 s6, 16
	s_cselect_b64 s[4:5], -1, 0
	s_and_b64 vcc, exec, s[4:5]
	s_cbranch_vccnz .LBB12_9
; %bb.4:
	s_bitcmp0_b32 s6, 0
	s_cbranch_scc0 .LBB12_6
; %bb.5:
	v_mbcnt_lo_u32_b32 v6, -1, 0
	v_mbcnt_hi_u32_b32 v6, -1, v6
	v_and_b32_e32 v7, 0x60, v6
	v_add_u32_e32 v7, 32, v7
	v_xor_b32_e32 v9, 16, v6
	v_cmp_lt_i32_e32 vcc, v9, v7
	s_waitcnt vmcnt(0)
	v_max_f32_e32 v5, v8, v8
	v_cndmask_b32_e32 v9, v6, v9, vcc
	v_max_f32_e32 v5, 0xff800000, v5
	v_lshlrev_b32_e32 v9, 2, v9
	ds_bpermute_b32 v10, v9, v5
	s_waitcnt lgkmcnt(0)
	s_mov_b32 s0, 0x3fb8aa3b
	v_max_f32_e32 v10, v10, v10
	v_max_f32_e32 v5, v5, v10
	v_xor_b32_e32 v10, 8, v6
	v_cmp_lt_i32_e32 vcc, v10, v7
	v_cndmask_b32_e32 v10, v6, v10, vcc
	v_lshlrev_b32_e32 v10, 2, v10
	ds_bpermute_b32 v11, v10, v5
	s_waitcnt lgkmcnt(0)
	v_max_f32_e32 v11, v11, v11
	v_max_f32_e32 v5, v5, v11
	v_xor_b32_e32 v11, 4, v6
	v_cmp_lt_i32_e32 vcc, v11, v7
	v_cndmask_b32_e32 v11, v6, v11, vcc
	v_lshlrev_b32_e32 v11, 2, v11
	ds_bpermute_b32 v12, v11, v5
	s_waitcnt lgkmcnt(0)
	;; [unrolled: 8-line block ×4, first 2 shown]
	v_max_f32_e32 v7, v7, v7
	v_max_f32_e32 v5, v5, v7
	v_sub_f32_e32 v5, v8, v5
	v_mul_f32_e32 v7, 0x3fb8aa3b, v5
	v_fma_f32 v13, v5, s0, -v7
	v_rndne_f32_e32 v14, v7
	v_fmac_f32_e32 v13, 0x32a5705f, v5
	v_sub_f32_e32 v7, v7, v14
	v_add_f32_e32 v7, v7, v13
	v_exp_f32_e32 v7, v7
	v_cvt_i32_f32_e32 v13, v14
	s_mov_b32 s0, 0xc2ce8ed0
	v_cmp_ngt_f32_e32 vcc, s0, v5
	s_mov_b32 s0, 0x42b17218
	v_ldexp_f32 v7, v7, v13
	v_cndmask_b32_e32 v7, 0, v7, vcc
	v_mov_b32_e32 v13, 0x7f800000
	v_cmp_nlt_f32_e32 vcc, s0, v5
	v_cndmask_b32_e32 v5, v13, v7, vcc
	ds_bpermute_b32 v7, v9, v5
	s_waitcnt lgkmcnt(0)
	v_add_f32_e32 v7, v5, v7
	ds_bpermute_b32 v9, v10, v7
	s_waitcnt lgkmcnt(0)
	v_add_f32_e32 v7, v7, v9
	;; [unrolled: 3-line block ×5, first 2 shown]
	v_div_scale_f32 v7, s[0:1], v6, v6, 1.0
	v_rcp_f32_e32 v9, v7
	v_div_scale_f32 v10, vcc, 1.0, v6, 1.0
	v_fma_f32 v11, -v7, v9, 1.0
	v_fmac_f32_e32 v9, v11, v9
	v_mul_f32_e32 v11, v10, v9
	v_fma_f32 v12, -v7, v11, v10
	v_fmac_f32_e32 v11, v12, v9
	v_fma_f32 v7, -v7, v11, v10
	v_div_fmas_f32 v7, v7, v9, v11
	v_div_fixup_f32 v6, v7, v6, 1.0
	v_mul_f32_e32 v5, v5, v6
	s_cbranch_execz .LBB12_7
	s_branch .LBB12_8
.LBB12_6:
	s_waitcnt lgkmcnt(0)
                                        ; implicit-def: $vgpr5
.LBB12_7:
	s_waitcnt vmcnt(0)
	v_mul_f32_e32 v5, 0xbfb8aa3b, v8
	s_mov_b32 s0, 0xbfb8aa3b
	v_rndne_f32_e32 v6, v5
	v_sub_f32_e32 v7, v5, v6
	v_fma_f32 v5, v8, s0, -v5
	v_fmac_f32_e32 v5, 0xb2a5705f, v8
	v_add_f32_e32 v5, v7, v5
	v_exp_f32_e32 v5, v5
	v_cvt_i32_f32_e32 v6, v6
	s_mov_b32 s0, 0x42ce8ed0
	v_cmp_nlt_f32_e32 vcc, s0, v8
	s_mov_b32 s0, 0xc2b17218
	v_ldexp_f32 v5, v5, v6
	v_cndmask_b32_e32 v5, 0, v5, vcc
	v_mov_b32_e32 v6, 0x7f800000
	v_cmp_ngt_f32_e32 vcc, s0, v8
	v_cndmask_b32_e32 v5, v6, v5, vcc
	v_add_f32_e32 v5, 1.0, v5
	v_div_scale_f32 v6, s[0:1], v5, v5, 1.0
	v_rcp_f32_e32 v7, v6
	v_fma_f32 v8, -v6, v7, 1.0
	v_fmac_f32_e32 v7, v8, v7
	v_div_scale_f32 v8, vcc, 1.0, v5, 1.0
	v_mul_f32_e32 v9, v8, v7
	v_fma_f32 v10, -v6, v9, v8
	v_fmac_f32_e32 v9, v10, v7
	v_fma_f32 v6, -v6, v9, v8
	v_div_fmas_f32 v6, v6, v7, v9
	v_div_fixup_f32 v5, v6, v5, 1.0
.LBB12_8:
	s_waitcnt vmcnt(0)
	v_mov_b32_e32 v8, v5
.LBB12_9:
	s_lshr_b32 s14, s6, 8
	s_cmp_gt_i32 s9, 0
	s_mov_b32 s8, 0
	s_cbranch_scc1 .LBB12_11
; %bb.10:
	s_bitcmp1_b32 s14, 0
	s_waitcnt lgkmcnt(0)
	s_mov_b64 s[0:1], 0
	s_cselect_b64 s[6:7], -1, 0
	s_branch .LBB12_12
.LBB12_11:
	s_waitcnt lgkmcnt(0)
	s_mov_b64 s[0:1], -1
                                        ; implicit-def: $sgpr8
                                        ; implicit-def: $sgpr6_sgpr7
.LBB12_12:
	s_andn2_b64 vcc, exec, s[0:1]
	v_mov_b32_e32 v7, s8
	v_mbcnt_lo_u32_b32 v6, -1, 0
	v_mov_b32_e32 v5, s8
	s_cbranch_vccnz .LBB12_37
; %bb.13:
	v_mov_b32_e32 v5, s13
	v_add_co_u32_e32 v0, vcc, s12, v0
	v_addc_co_u32_e32 v1, vcc, v5, v1, vcc
	v_mov_b32_e32 v5, 0xff7fffff
	s_waitcnt vmcnt(0)
	v_cmp_o_f32_e32 vcc, v8, v8
	v_cndmask_b32_e32 v8, v5, v8, vcc
	v_mbcnt_hi_u32_b32 v5, -1, v6
	v_and_b32_e32 v7, 0x60, v5
	v_add_u32_e32 v7, 32, v7
	v_xor_b32_e32 v9, 16, v5
	v_cmp_lt_i32_e32 vcc, v9, v7
	v_xor_b32_e32 v10, 8, v5
	v_cndmask_b32_e32 v9, v5, v9, vcc
	v_cmp_lt_i32_e32 vcc, v10, v7
	v_xor_b32_e32 v11, 4, v5
	v_cndmask_b32_e32 v10, v5, v10, vcc
	v_cmp_lt_i32_e32 vcc, v11, v7
	v_xor_b32_e32 v12, 2, v5
	v_cndmask_b32_e32 v11, v5, v11, vcc
	v_cmp_lt_i32_e32 vcc, v12, v7
	v_xor_b32_e32 v13, 1, v5
	v_cndmask_b32_e32 v12, v5, v12, vcc
	v_cmp_lt_i32_e32 vcc, v13, v7
	s_bitcmp1_b32 s14, 0
	v_cndmask_b32_e32 v5, v5, v13, vcc
	s_mov_b32 s8, 0
	s_cselect_b64 s[6:7], -1, 0
	v_lshlrev_b32_e32 v9, 2, v9
	v_lshlrev_b32_e32 v10, 2, v10
	;; [unrolled: 1-line block ×5, first 2 shown]
	v_mov_b32_e32 v7, 0
	v_mov_b32_e32 v14, 0xff800000
	;; [unrolled: 1-line block ×3, first 2 shown]
	s_branch .LBB12_15
.LBB12_14:                              ;   in Loop: Header=BB12_15 Depth=1
	s_or_b64 exec, exec, s[0:1]
	s_and_b32 s0, s8, 31
	v_cndmask_b32_e32 v8, v8, v14, vcc
	v_cmp_eq_u32_e32 vcc, s0, v4
	v_cndmask_b32_e32 v5, v5, v15, vcc
	s_add_i32 s8, s8, 1
	v_add_co_u32_e32 v0, vcc, 4, v0
	s_cmp_eq_u32 s9, s8
	v_addc_co_u32_e32 v1, vcc, 0, v1, vcc
	s_cbranch_scc1 .LBB12_37
.LBB12_15:                              ; =>This Inner Loop Header: Depth=1
	s_waitcnt lgkmcnt(0)
	ds_bpermute_b32 v18, v9, v8
	ds_bpermute_b32 v19, v9, v4
                                        ; implicit-def: $vgpr17
	s_waitcnt lgkmcnt(1)
	v_cmp_lt_f32_e64 s[12:13], v8, v18
	v_cmp_nlt_f32_e32 vcc, v8, v18
	s_and_saveexec_b64 s[14:15], vcc
	s_cbranch_execz .LBB12_17
; %bb.16:                               ;   in Loop: Header=BB12_15 Depth=1
	v_cmp_eq_f32_e32 vcc, v8, v18
	s_waitcnt lgkmcnt(0)
	v_cmp_lt_i32_e64 s[0:1], v19, v4
	s_and_b64 s[0:1], vcc, s[0:1]
	s_andn2_b64 s[12:13], s[12:13], exec
	s_and_b64 s[0:1], s[0:1], exec
	s_or_b64 s[12:13], s[12:13], s[0:1]
	v_mov_b32_e32 v17, v8
.LBB12_17:                              ;   in Loop: Header=BB12_15 Depth=1
	s_or_b64 exec, exec, s[14:15]
	v_mov_b32_e32 v15, v8
	v_mov_b32_e32 v16, v4
	s_and_saveexec_b64 s[0:1], s[12:13]
	s_cbranch_execz .LBB12_19
; %bb.18:                               ;   in Loop: Header=BB12_15 Depth=1
	v_mov_b32_e32 v17, v18
	v_mov_b32_e32 v15, v18
	s_waitcnt lgkmcnt(0)
	v_mov_b32_e32 v16, v19
.LBB12_19:                              ;   in Loop: Header=BB12_15 Depth=1
	s_or_b64 exec, exec, s[0:1]
	ds_bpermute_b32 v18, v10, v17
	s_waitcnt lgkmcnt(1)
	ds_bpermute_b32 v19, v10, v16
	s_waitcnt lgkmcnt(1)
	v_cmp_lt_f32_e64 s[12:13], v15, v18
	v_cmp_nlt_f32_e32 vcc, v15, v18
	s_and_saveexec_b64 s[14:15], vcc
	s_cbranch_execz .LBB12_21
; %bb.20:                               ;   in Loop: Header=BB12_15 Depth=1
	v_cmp_eq_f32_e32 vcc, v15, v18
	s_waitcnt lgkmcnt(0)
	v_cmp_lt_i32_e64 s[0:1], v19, v16
	s_and_b64 s[0:1], vcc, s[0:1]
	s_andn2_b64 s[12:13], s[12:13], exec
	s_and_b64 s[0:1], s[0:1], exec
	s_or_b64 s[12:13], s[12:13], s[0:1]
.LBB12_21:                              ;   in Loop: Header=BB12_15 Depth=1
	s_or_b64 exec, exec, s[14:15]
	s_and_saveexec_b64 s[0:1], s[12:13]
	s_cbranch_execz .LBB12_23
; %bb.22:                               ;   in Loop: Header=BB12_15 Depth=1
	v_mov_b32_e32 v17, v18
	v_mov_b32_e32 v15, v18
	s_waitcnt lgkmcnt(0)
	v_mov_b32_e32 v16, v19
.LBB12_23:                              ;   in Loop: Header=BB12_15 Depth=1
	s_or_b64 exec, exec, s[0:1]
	ds_bpermute_b32 v18, v11, v17
	s_waitcnt lgkmcnt(1)
	ds_bpermute_b32 v19, v11, v16
	s_waitcnt lgkmcnt(1)
	v_cmp_lt_f32_e64 s[12:13], v15, v18
	v_cmp_nlt_f32_e32 vcc, v15, v18
	s_and_saveexec_b64 s[14:15], vcc
	s_cbranch_execz .LBB12_25
; %bb.24:                               ;   in Loop: Header=BB12_15 Depth=1
	v_cmp_eq_f32_e32 vcc, v15, v18
	s_waitcnt lgkmcnt(0)
	v_cmp_lt_i32_e64 s[0:1], v19, v16
	s_and_b64 s[0:1], vcc, s[0:1]
	s_andn2_b64 s[12:13], s[12:13], exec
	s_and_b64 s[0:1], s[0:1], exec
	s_or_b64 s[12:13], s[12:13], s[0:1]
.LBB12_25:                              ;   in Loop: Header=BB12_15 Depth=1
	s_or_b64 exec, exec, s[14:15]
	;; [unrolled: 27-line block ×3, first 2 shown]
	s_and_saveexec_b64 s[0:1], s[12:13]
	s_cbranch_execz .LBB12_31
; %bb.30:                               ;   in Loop: Header=BB12_15 Depth=1
	v_mov_b32_e32 v17, v18
	v_mov_b32_e32 v15, v18
	s_waitcnt lgkmcnt(0)
	v_mov_b32_e32 v16, v19
.LBB12_31:                              ;   in Loop: Header=BB12_15 Depth=1
	s_or_b64 exec, exec, s[0:1]
	ds_bpermute_b32 v17, v13, v17
	ds_bpermute_b32 v18, v13, v16
	s_waitcnt lgkmcnt(1)
	v_cmp_lt_f32_e64 s[12:13], v15, v17
	v_cmp_nlt_f32_e32 vcc, v15, v17
	s_and_saveexec_b64 s[14:15], vcc
	s_cbranch_execz .LBB12_33
; %bb.32:                               ;   in Loop: Header=BB12_15 Depth=1
	v_cmp_eq_f32_e32 vcc, v15, v17
	s_waitcnt lgkmcnt(0)
	v_cmp_lt_i32_e64 s[0:1], v18, v16
	s_and_b64 s[0:1], vcc, s[0:1]
	s_andn2_b64 s[12:13], s[12:13], exec
	s_and_b64 s[0:1], s[0:1], exec
	s_or_b64 s[12:13], s[12:13], s[0:1]
.LBB12_33:                              ;   in Loop: Header=BB12_15 Depth=1
	s_or_b64 exec, exec, s[14:15]
	s_and_saveexec_b64 s[0:1], s[12:13]
	s_cbranch_execz .LBB12_35
; %bb.34:                               ;   in Loop: Header=BB12_15 Depth=1
	v_mov_b32_e32 v15, v17
	s_waitcnt lgkmcnt(0)
	v_mov_b32_e32 v16, v18
.LBB12_35:                              ;   in Loop: Header=BB12_15 Depth=1
	s_or_b64 exec, exec, s[0:1]
	v_and_b32_e32 v17, 31, v16
	v_cmp_eq_u32_e32 vcc, v17, v4
	s_and_saveexec_b64 s[0:1], vcc
	s_cbranch_execz .LBB12_14
; %bb.36:                               ;   in Loop: Header=BB12_15 Depth=1
	v_add_f32_e32 v17, v7, v15
	v_cndmask_b32_e64 v7, v7, v17, s[6:7]
	global_store_dword v[0:1], v16, off
	s_branch .LBB12_14
.LBB12_37:
	s_and_b64 vcc, exec, s[6:7]
	s_cbranch_vccnz .LBB12_42
; %bb.38:
	s_andn2_b64 vcc, exec, s[4:5]
	v_cmp_gt_i32_e64 s[0:1], s9, v4
	s_cbranch_vccz .LBB12_43
.LBB12_39:
	v_cmp_gt_i32_e32 vcc, s9, v4
	s_and_b64 exec, exec, vcc
	s_cbranch_execz .LBB12_41
.LBB12_40:
	v_mul_lo_u32 v0, v2, s9
	v_ashrrev_i32_e32 v1, 31, v0
	v_lshlrev_b64 v[0:1], 2, v[0:1]
	v_mov_b32_e32 v2, s3
	v_add_co_u32_e32 v0, vcc, s2, v0
	v_addc_co_u32_e32 v1, vcc, v2, v1, vcc
	v_add_co_u32_e32 v0, vcc, v0, v3
	v_addc_co_u32_e32 v1, vcc, 0, v1, vcc
	v_mul_f32_e32 v2, s11, v5
	global_store_dword v[0:1], v2, off
.LBB12_41:
	s_endpgm
.LBB12_42:
	v_mbcnt_hi_u32_b32 v0, -1, v6
	v_and_b32_e32 v1, 0x60, v0
	v_add_u32_e32 v1, 32, v1
	s_waitcnt vmcnt(0)
	v_xor_b32_e32 v8, 16, v0
	v_cmp_lt_i32_e32 vcc, v8, v1
	v_cndmask_b32_e32 v8, v0, v8, vcc
	v_lshlrev_b32_e32 v8, 2, v8
	ds_bpermute_b32 v8, v8, v7
	v_xor_b32_e32 v9, 8, v0
	v_cmp_lt_i32_e32 vcc, v9, v1
	s_waitcnt lgkmcnt(0)
	v_add_f32_e32 v7, v7, v8
	v_cndmask_b32_e32 v8, v0, v9, vcc
	v_lshlrev_b32_e32 v8, 2, v8
	ds_bpermute_b32 v8, v8, v7
	v_xor_b32_e32 v9, 4, v0
	v_cmp_lt_i32_e32 vcc, v9, v1
	s_waitcnt lgkmcnt(0)
	v_add_f32_e32 v7, v7, v8
	v_cndmask_b32_e32 v8, v0, v9, vcc
	v_lshlrev_b32_e32 v8, 2, v8
	ds_bpermute_b32 v8, v8, v7
	v_xor_b32_e32 v9, 2, v0
	v_cmp_lt_i32_e32 vcc, v9, v1
	s_waitcnt lgkmcnt(0)
	v_add_f32_e32 v7, v7, v8
	v_cndmask_b32_e32 v8, v0, v9, vcc
	v_lshlrev_b32_e32 v8, 2, v8
	ds_bpermute_b32 v8, v8, v7
	v_xor_b32_e32 v9, 1, v0
	v_cmp_lt_i32_e32 vcc, v9, v1
	v_cndmask_b32_e32 v0, v0, v9, vcc
	v_lshlrev_b32_e32 v0, 2, v0
	s_waitcnt lgkmcnt(0)
	v_add_f32_e32 v7, v7, v8
	ds_bpermute_b32 v0, v0, v7
	v_max_f32_e64 v1, s10, s10
	s_waitcnt lgkmcnt(0)
	v_add_f32_e32 v0, v7, v0
	v_max_f32_e32 v0, v0, v1
	v_div_scale_f32 v1, s[0:1], v0, v0, 1.0
	v_rcp_f32_e32 v7, v1
	v_div_scale_f32 v8, vcc, 1.0, v0, 1.0
	v_fma_f32 v9, -v1, v7, 1.0
	v_fmac_f32_e32 v7, v9, v7
	v_mul_f32_e32 v9, v8, v7
	v_fma_f32 v10, -v1, v9, v8
	v_fmac_f32_e32 v9, v10, v7
	v_fma_f32 v1, -v1, v9, v8
	v_div_fmas_f32 v1, v1, v7, v9
	v_div_fixup_f32 v0, v1, v0, 1.0
	v_mul_f32_e32 v5, v5, v0
	s_andn2_b64 vcc, exec, s[4:5]
	v_cmp_gt_i32_e64 s[0:1], s9, v4
	s_cbranch_vccnz .LBB12_39
.LBB12_43:
	v_max_f32_e32 v0, v5, v5
	v_max_f32_e32 v0, 0xff800000, v0
	v_mov_b32_e32 v1, 0xff800000
	v_cndmask_b32_e64 v0, v1, v0, s[0:1]
	v_mbcnt_hi_u32_b32 v1, -1, v6
	v_and_b32_e32 v6, 0x60, v1
	v_add_u32_e32 v6, 32, v6
	v_xor_b32_e32 v7, 16, v1
	v_cmp_lt_i32_e32 vcc, v7, v6
	v_cndmask_b32_e32 v7, v1, v7, vcc
	v_lshlrev_b32_e32 v7, 2, v7
	s_waitcnt vmcnt(0)
	ds_bpermute_b32 v8, v7, v0
	s_mov_b32 s4, 0x3fb8aa3b
	s_waitcnt lgkmcnt(0)
	v_max_f32_e32 v8, v8, v8
	v_max_f32_e32 v0, v0, v8
	v_xor_b32_e32 v8, 8, v1
	v_cmp_lt_i32_e32 vcc, v8, v6
	v_cndmask_b32_e32 v8, v1, v8, vcc
	v_lshlrev_b32_e32 v8, 2, v8
	ds_bpermute_b32 v9, v8, v0
	s_waitcnt lgkmcnt(0)
	v_max_f32_e32 v9, v9, v9
	v_max_f32_e32 v0, v0, v9
	v_xor_b32_e32 v9, 4, v1
	v_cmp_lt_i32_e32 vcc, v9, v6
	v_cndmask_b32_e32 v9, v1, v9, vcc
	v_lshlrev_b32_e32 v9, 2, v9
	ds_bpermute_b32 v10, v9, v0
	;; [unrolled: 8-line block ×4, first 2 shown]
	s_waitcnt lgkmcnt(0)
	v_max_f32_e32 v1, v1, v1
	v_max_f32_e32 v0, v0, v1
	v_sub_f32_e32 v0, v5, v0
	v_mul_f32_e32 v1, 0x3fb8aa3b, v0
	v_fma_f32 v5, v0, s4, -v1
	v_rndne_f32_e32 v11, v1
	v_fmac_f32_e32 v5, 0x32a5705f, v0
	v_sub_f32_e32 v1, v1, v11
	v_add_f32_e32 v1, v1, v5
	v_exp_f32_e32 v1, v1
	v_cvt_i32_f32_e32 v5, v11
	s_mov_b32 s4, 0xc2ce8ed0
	v_cmp_ngt_f32_e32 vcc, s4, v0
	s_mov_b32 s4, 0x42b17218
	v_ldexp_f32 v1, v1, v5
	v_cndmask_b32_e32 v1, 0, v1, vcc
	v_mov_b32_e32 v5, 0x7f800000
	v_cmp_nlt_f32_e32 vcc, s4, v0
	v_cndmask_b32_e32 v0, v5, v1, vcc
	v_cndmask_b32_e64 v1, 0, v0, s[0:1]
	ds_bpermute_b32 v5, v7, v1
	s_waitcnt lgkmcnt(0)
	v_add_f32_e32 v1, v1, v5
	ds_bpermute_b32 v5, v8, v1
	s_waitcnt lgkmcnt(0)
	v_add_f32_e32 v1, v1, v5
	;; [unrolled: 3-line block ×4, first 2 shown]
	ds_bpermute_b32 v6, v6, v1
	v_mov_b32_e32 v5, 0
	s_and_saveexec_b64 s[4:5], s[0:1]
	s_cbranch_execz .LBB12_45
; %bb.44:
	s_waitcnt lgkmcnt(0)
	v_add_f32_e32 v1, v1, v6
	v_div_scale_f32 v5, s[0:1], v1, v1, 1.0
	v_rcp_f32_e32 v6, v5
	v_div_scale_f32 v7, vcc, 1.0, v1, 1.0
	v_fma_f32 v8, -v5, v6, 1.0
	v_fmac_f32_e32 v6, v8, v6
	v_mul_f32_e32 v8, v7, v6
	v_fma_f32 v9, -v5, v8, v7
	v_fmac_f32_e32 v8, v9, v6
	v_fma_f32 v5, -v5, v8, v7
	v_div_fmas_f32 v5, v5, v6, v8
	v_div_fixup_f32 v1, v5, v1, 1.0
	v_mul_f32_e32 v5, v0, v1
.LBB12_45:
	s_or_b64 exec, exec, s[4:5]
	v_cmp_gt_i32_e32 vcc, s9, v4
	s_and_b64 exec, exec, vcc
	s_cbranch_execnz .LBB12_40
	s_branch .LBB12_41
	.section	.rodata,"a",@progbits
	.p2align	6, 0x0
	.amdhsa_kernel _Z13topk_moe_cudaILi2ELb0EEvPKfPfPiS2_iiff15topk_moe_config
		.amdhsa_group_segment_fixed_size 0
		.amdhsa_private_segment_fixed_size 0
		.amdhsa_kernarg_size 312
		.amdhsa_user_sgpr_count 6
		.amdhsa_user_sgpr_private_segment_buffer 1
		.amdhsa_user_sgpr_dispatch_ptr 0
		.amdhsa_user_sgpr_queue_ptr 0
		.amdhsa_user_sgpr_kernarg_segment_ptr 1
		.amdhsa_user_sgpr_dispatch_id 0
		.amdhsa_user_sgpr_flat_scratch_init 0
		.amdhsa_user_sgpr_kernarg_preload_length 0
		.amdhsa_user_sgpr_kernarg_preload_offset 0
		.amdhsa_user_sgpr_private_segment_size 0
		.amdhsa_uses_dynamic_stack 0
		.amdhsa_system_sgpr_private_segment_wavefront_offset 0
		.amdhsa_system_sgpr_workgroup_id_x 1
		.amdhsa_system_sgpr_workgroup_id_y 0
		.amdhsa_system_sgpr_workgroup_id_z 0
		.amdhsa_system_sgpr_workgroup_info 0
		.amdhsa_system_vgpr_workitem_id 1
		.amdhsa_next_free_vgpr 20
		.amdhsa_next_free_sgpr 16
		.amdhsa_accum_offset 20
		.amdhsa_reserve_vcc 1
		.amdhsa_reserve_flat_scratch 0
		.amdhsa_float_round_mode_32 0
		.amdhsa_float_round_mode_16_64 0
		.amdhsa_float_denorm_mode_32 3
		.amdhsa_float_denorm_mode_16_64 3
		.amdhsa_dx10_clamp 1
		.amdhsa_ieee_mode 1
		.amdhsa_fp16_overflow 0
		.amdhsa_tg_split 0
		.amdhsa_exception_fp_ieee_invalid_op 0
		.amdhsa_exception_fp_denorm_src 0
		.amdhsa_exception_fp_ieee_div_zero 0
		.amdhsa_exception_fp_ieee_overflow 0
		.amdhsa_exception_fp_ieee_underflow 0
		.amdhsa_exception_fp_ieee_inexact 0
		.amdhsa_exception_int_div_zero 0
	.end_amdhsa_kernel
	.section	.text._Z13topk_moe_cudaILi2ELb0EEvPKfPfPiS2_iiff15topk_moe_config,"axG",@progbits,_Z13topk_moe_cudaILi2ELb0EEvPKfPfPiS2_iiff15topk_moe_config,comdat
.Lfunc_end12:
	.size	_Z13topk_moe_cudaILi2ELb0EEvPKfPfPiS2_iiff15topk_moe_config, .Lfunc_end12-_Z13topk_moe_cudaILi2ELb0EEvPKfPfPiS2_iiff15topk_moe_config
                                        ; -- End function
	.section	.AMDGPU.csdata,"",@progbits
; Kernel info:
; codeLenInByte = 2700
; NumSgprs: 20
; NumVgprs: 20
; NumAgprs: 0
; TotalNumVgprs: 20
; ScratchSize: 0
; MemoryBound: 0
; FloatMode: 240
; IeeeMode: 1
; LDSByteSize: 0 bytes/workgroup (compile time only)
; SGPRBlocks: 2
; VGPRBlocks: 2
; NumSGPRsForWavesPerEU: 20
; NumVGPRsForWavesPerEU: 20
; AccumOffset: 20
; Occupancy: 8
; WaveLimiterHint : 0
; COMPUTE_PGM_RSRC2:SCRATCH_EN: 0
; COMPUTE_PGM_RSRC2:USER_SGPR: 6
; COMPUTE_PGM_RSRC2:TRAP_HANDLER: 0
; COMPUTE_PGM_RSRC2:TGID_X_EN: 1
; COMPUTE_PGM_RSRC2:TGID_Y_EN: 0
; COMPUTE_PGM_RSRC2:TGID_Z_EN: 0
; COMPUTE_PGM_RSRC2:TIDIG_COMP_CNT: 1
; COMPUTE_PGM_RSRC3_GFX90A:ACCUM_OFFSET: 4
; COMPUTE_PGM_RSRC3_GFX90A:TG_SPLIT: 0
	.section	.text._Z13topk_moe_cudaILi4ELb0EEvPKfPfPiS2_iiff15topk_moe_config,"axG",@progbits,_Z13topk_moe_cudaILi4ELb0EEvPKfPfPiS2_iiff15topk_moe_config,comdat
	.protected	_Z13topk_moe_cudaILi4ELb0EEvPKfPfPiS2_iiff15topk_moe_config ; -- Begin function _Z13topk_moe_cudaILi4ELb0EEvPKfPfPiS2_iiff15topk_moe_config
	.globl	_Z13topk_moe_cudaILi4ELb0EEvPKfPfPiS2_iiff15topk_moe_config
	.p2align	8
	.type	_Z13topk_moe_cudaILi4ELb0EEvPKfPfPiS2_iiff15topk_moe_config,@function
_Z13topk_moe_cudaILi4ELb0EEvPKfPfPiS2_iiff15topk_moe_config: ; @_Z13topk_moe_cudaILi4ELb0EEvPKfPfPiS2_iiff15topk_moe_config
; %bb.0:
	s_load_dword s0, s[4:5], 0x44
	s_load_dwordx4 s[8:11], s[4:5], 0x20
	v_bfe_u32 v1, v0, 10, 10
	s_waitcnt lgkmcnt(0)
	s_lshr_b32 s0, s0, 16
	s_mul_i32 s6, s6, s0
	v_add_u32_e32 v2, s6, v1
	v_cmp_gt_i32_e32 vcc, s8, v2
	s_and_saveexec_b64 s[0:1], vcc
	s_cbranch_execz .LBB13_41
; %bb.1:
	v_mov_b32_e32 v1, 0
	global_load_ushort v3, v1, s[4:5] offset:48
	global_load_ubyte v5, v1, s[4:5] offset:50
	v_lshlrev_b32_e32 v6, 2, v2
	v_mov_b32_e32 v9, 8
	v_ashrrev_i32_e32 v7, 31, v6
	s_load_dwordx4 s[0:3], s[4:5], 0x0
	s_load_dwordx2 s[12:13], s[4:5], 0x10
	v_and_b32_e32 v4, 0x3ff, v0
	v_lshlrev_b64 v[0:1], 2, v[6:7]
	v_mov_b32_e32 v8, 0xff800000
	v_cmp_gt_u32_e32 vcc, 4, v4
	s_waitcnt vmcnt(1)
	v_lshrrev_b32_sdwa v6, v9, v3 dst_sel:BYTE_1 dst_unused:UNUSED_PAD src0_sel:DWORD src1_sel:DWORD
	v_or_b32_sdwa v3, v3, v6 dst_sel:DWORD dst_unused:UNUSED_PAD src0_sel:BYTE_0 src1_sel:DWORD
	s_waitcnt vmcnt(0)
	v_readfirstlane_b32 s4, v5
	v_readfirstlane_b32 s5, v3
	s_lshl_b32 s4, s4, 16
	s_and_b32 s5, 0xffff, s5
	s_or_b32 s6, s5, s4
	v_lshlrev_b32_e32 v3, 2, v4
	s_and_saveexec_b64 s[4:5], vcc
	s_cbranch_execz .LBB13_3
; %bb.2:
	s_waitcnt lgkmcnt(0)
	v_mov_b32_e32 v5, s1
	v_add_co_u32_e32 v6, vcc, s0, v0
	v_addc_co_u32_e32 v5, vcc, v5, v1, vcc
	v_add_co_u32_e32 v6, vcc, v6, v3
	v_addc_co_u32_e32 v7, vcc, 0, v5, vcc
	global_load_dword v8, v[6:7], off
.LBB13_3:
	s_or_b64 exec, exec, s[4:5]
	s_bitcmp1_b32 s6, 16
	s_cselect_b64 s[4:5], -1, 0
	s_and_b64 vcc, exec, s[4:5]
	s_cbranch_vccnz .LBB13_9
; %bb.4:
	s_bitcmp0_b32 s6, 0
	s_cbranch_scc0 .LBB13_6
; %bb.5:
	v_mbcnt_lo_u32_b32 v6, -1, 0
	v_mbcnt_hi_u32_b32 v6, -1, v6
	v_and_b32_e32 v7, 0x60, v6
	v_add_u32_e32 v7, 32, v7
	v_xor_b32_e32 v9, 16, v6
	v_cmp_lt_i32_e32 vcc, v9, v7
	s_waitcnt vmcnt(0)
	v_max_f32_e32 v5, v8, v8
	v_cndmask_b32_e32 v9, v6, v9, vcc
	v_max_f32_e32 v5, 0xff800000, v5
	v_lshlrev_b32_e32 v9, 2, v9
	ds_bpermute_b32 v10, v9, v5
	s_waitcnt lgkmcnt(0)
	s_mov_b32 s0, 0x3fb8aa3b
	v_max_f32_e32 v10, v10, v10
	v_max_f32_e32 v5, v5, v10
	v_xor_b32_e32 v10, 8, v6
	v_cmp_lt_i32_e32 vcc, v10, v7
	v_cndmask_b32_e32 v10, v6, v10, vcc
	v_lshlrev_b32_e32 v10, 2, v10
	ds_bpermute_b32 v11, v10, v5
	s_waitcnt lgkmcnt(0)
	v_max_f32_e32 v11, v11, v11
	v_max_f32_e32 v5, v5, v11
	v_xor_b32_e32 v11, 4, v6
	v_cmp_lt_i32_e32 vcc, v11, v7
	v_cndmask_b32_e32 v11, v6, v11, vcc
	v_lshlrev_b32_e32 v11, 2, v11
	ds_bpermute_b32 v12, v11, v5
	s_waitcnt lgkmcnt(0)
	;; [unrolled: 8-line block ×4, first 2 shown]
	v_max_f32_e32 v7, v7, v7
	v_max_f32_e32 v5, v5, v7
	v_sub_f32_e32 v5, v8, v5
	v_mul_f32_e32 v7, 0x3fb8aa3b, v5
	v_fma_f32 v13, v5, s0, -v7
	v_rndne_f32_e32 v14, v7
	v_fmac_f32_e32 v13, 0x32a5705f, v5
	v_sub_f32_e32 v7, v7, v14
	v_add_f32_e32 v7, v7, v13
	v_exp_f32_e32 v7, v7
	v_cvt_i32_f32_e32 v13, v14
	s_mov_b32 s0, 0xc2ce8ed0
	v_cmp_ngt_f32_e32 vcc, s0, v5
	s_mov_b32 s0, 0x42b17218
	v_ldexp_f32 v7, v7, v13
	v_cndmask_b32_e32 v7, 0, v7, vcc
	v_mov_b32_e32 v13, 0x7f800000
	v_cmp_nlt_f32_e32 vcc, s0, v5
	v_cndmask_b32_e32 v5, v13, v7, vcc
	ds_bpermute_b32 v7, v9, v5
	s_waitcnt lgkmcnt(0)
	v_add_f32_e32 v7, v5, v7
	ds_bpermute_b32 v9, v10, v7
	s_waitcnt lgkmcnt(0)
	v_add_f32_e32 v7, v7, v9
	;; [unrolled: 3-line block ×5, first 2 shown]
	v_div_scale_f32 v7, s[0:1], v6, v6, 1.0
	v_rcp_f32_e32 v9, v7
	v_div_scale_f32 v10, vcc, 1.0, v6, 1.0
	v_fma_f32 v11, -v7, v9, 1.0
	v_fmac_f32_e32 v9, v11, v9
	v_mul_f32_e32 v11, v10, v9
	v_fma_f32 v12, -v7, v11, v10
	v_fmac_f32_e32 v11, v12, v9
	v_fma_f32 v7, -v7, v11, v10
	v_div_fmas_f32 v7, v7, v9, v11
	v_div_fixup_f32 v6, v7, v6, 1.0
	v_mul_f32_e32 v5, v5, v6
	s_cbranch_execz .LBB13_7
	s_branch .LBB13_8
.LBB13_6:
	s_waitcnt lgkmcnt(0)
                                        ; implicit-def: $vgpr5
.LBB13_7:
	s_waitcnt vmcnt(0)
	v_mul_f32_e32 v5, 0xbfb8aa3b, v8
	s_mov_b32 s0, 0xbfb8aa3b
	v_rndne_f32_e32 v6, v5
	v_sub_f32_e32 v7, v5, v6
	v_fma_f32 v5, v8, s0, -v5
	v_fmac_f32_e32 v5, 0xb2a5705f, v8
	v_add_f32_e32 v5, v7, v5
	v_exp_f32_e32 v5, v5
	v_cvt_i32_f32_e32 v6, v6
	s_mov_b32 s0, 0x42ce8ed0
	v_cmp_nlt_f32_e32 vcc, s0, v8
	s_mov_b32 s0, 0xc2b17218
	v_ldexp_f32 v5, v5, v6
	v_cndmask_b32_e32 v5, 0, v5, vcc
	v_mov_b32_e32 v6, 0x7f800000
	v_cmp_ngt_f32_e32 vcc, s0, v8
	v_cndmask_b32_e32 v5, v6, v5, vcc
	v_add_f32_e32 v5, 1.0, v5
	v_div_scale_f32 v6, s[0:1], v5, v5, 1.0
	v_rcp_f32_e32 v7, v6
	v_fma_f32 v8, -v6, v7, 1.0
	v_fmac_f32_e32 v7, v8, v7
	v_div_scale_f32 v8, vcc, 1.0, v5, 1.0
	v_mul_f32_e32 v9, v8, v7
	v_fma_f32 v10, -v6, v9, v8
	v_fmac_f32_e32 v9, v10, v7
	v_fma_f32 v6, -v6, v9, v8
	v_div_fmas_f32 v6, v6, v7, v9
	v_div_fixup_f32 v5, v6, v5, 1.0
.LBB13_8:
	s_waitcnt vmcnt(0)
	v_mov_b32_e32 v8, v5
.LBB13_9:
	s_lshr_b32 s14, s6, 8
	s_cmp_gt_i32 s9, 0
	s_mov_b32 s8, 0
	s_cbranch_scc1 .LBB13_11
; %bb.10:
	s_bitcmp1_b32 s14, 0
	s_waitcnt lgkmcnt(0)
	s_mov_b64 s[0:1], 0
	s_cselect_b64 s[6:7], -1, 0
	s_branch .LBB13_12
.LBB13_11:
	s_waitcnt lgkmcnt(0)
	s_mov_b64 s[0:1], -1
                                        ; implicit-def: $sgpr8
                                        ; implicit-def: $sgpr6_sgpr7
.LBB13_12:
	s_andn2_b64 vcc, exec, s[0:1]
	v_mov_b32_e32 v7, s8
	v_mbcnt_lo_u32_b32 v6, -1, 0
	v_mov_b32_e32 v5, s8
	s_cbranch_vccnz .LBB13_37
; %bb.13:
	v_mov_b32_e32 v5, s13
	v_add_co_u32_e32 v0, vcc, s12, v0
	v_addc_co_u32_e32 v1, vcc, v5, v1, vcc
	v_mov_b32_e32 v5, 0xff7fffff
	s_waitcnt vmcnt(0)
	v_cmp_o_f32_e32 vcc, v8, v8
	v_cndmask_b32_e32 v8, v5, v8, vcc
	v_mbcnt_hi_u32_b32 v5, -1, v6
	v_and_b32_e32 v7, 0x60, v5
	v_add_u32_e32 v7, 32, v7
	v_xor_b32_e32 v9, 16, v5
	v_cmp_lt_i32_e32 vcc, v9, v7
	v_xor_b32_e32 v10, 8, v5
	v_cndmask_b32_e32 v9, v5, v9, vcc
	v_cmp_lt_i32_e32 vcc, v10, v7
	v_xor_b32_e32 v11, 4, v5
	v_cndmask_b32_e32 v10, v5, v10, vcc
	v_cmp_lt_i32_e32 vcc, v11, v7
	v_xor_b32_e32 v12, 2, v5
	v_cndmask_b32_e32 v11, v5, v11, vcc
	v_cmp_lt_i32_e32 vcc, v12, v7
	v_xor_b32_e32 v13, 1, v5
	v_cndmask_b32_e32 v12, v5, v12, vcc
	v_cmp_lt_i32_e32 vcc, v13, v7
	s_bitcmp1_b32 s14, 0
	v_cndmask_b32_e32 v5, v5, v13, vcc
	s_mov_b32 s8, 0
	s_cselect_b64 s[6:7], -1, 0
	v_lshlrev_b32_e32 v9, 2, v9
	v_lshlrev_b32_e32 v10, 2, v10
	;; [unrolled: 1-line block ×5, first 2 shown]
	v_mov_b32_e32 v7, 0
	v_mov_b32_e32 v14, 0xff800000
	;; [unrolled: 1-line block ×3, first 2 shown]
	s_branch .LBB13_15
.LBB13_14:                              ;   in Loop: Header=BB13_15 Depth=1
	s_or_b64 exec, exec, s[0:1]
	s_and_b32 s0, s8, 31
	v_cndmask_b32_e32 v8, v8, v14, vcc
	v_cmp_eq_u32_e32 vcc, s0, v4
	v_cndmask_b32_e32 v5, v5, v15, vcc
	s_add_i32 s8, s8, 1
	v_add_co_u32_e32 v0, vcc, 4, v0
	s_cmp_eq_u32 s9, s8
	v_addc_co_u32_e32 v1, vcc, 0, v1, vcc
	s_cbranch_scc1 .LBB13_37
.LBB13_15:                              ; =>This Inner Loop Header: Depth=1
	s_waitcnt lgkmcnt(0)
	ds_bpermute_b32 v18, v9, v8
	ds_bpermute_b32 v19, v9, v4
                                        ; implicit-def: $vgpr17
	s_waitcnt lgkmcnt(1)
	v_cmp_lt_f32_e64 s[12:13], v8, v18
	v_cmp_nlt_f32_e32 vcc, v8, v18
	s_and_saveexec_b64 s[14:15], vcc
	s_cbranch_execz .LBB13_17
; %bb.16:                               ;   in Loop: Header=BB13_15 Depth=1
	v_cmp_eq_f32_e32 vcc, v8, v18
	s_waitcnt lgkmcnt(0)
	v_cmp_lt_i32_e64 s[0:1], v19, v4
	s_and_b64 s[0:1], vcc, s[0:1]
	s_andn2_b64 s[12:13], s[12:13], exec
	s_and_b64 s[0:1], s[0:1], exec
	s_or_b64 s[12:13], s[12:13], s[0:1]
	v_mov_b32_e32 v17, v8
.LBB13_17:                              ;   in Loop: Header=BB13_15 Depth=1
	s_or_b64 exec, exec, s[14:15]
	v_mov_b32_e32 v15, v8
	v_mov_b32_e32 v16, v4
	s_and_saveexec_b64 s[0:1], s[12:13]
	s_cbranch_execz .LBB13_19
; %bb.18:                               ;   in Loop: Header=BB13_15 Depth=1
	v_mov_b32_e32 v17, v18
	v_mov_b32_e32 v15, v18
	s_waitcnt lgkmcnt(0)
	v_mov_b32_e32 v16, v19
.LBB13_19:                              ;   in Loop: Header=BB13_15 Depth=1
	s_or_b64 exec, exec, s[0:1]
	ds_bpermute_b32 v18, v10, v17
	s_waitcnt lgkmcnt(1)
	ds_bpermute_b32 v19, v10, v16
	s_waitcnt lgkmcnt(1)
	v_cmp_lt_f32_e64 s[12:13], v15, v18
	v_cmp_nlt_f32_e32 vcc, v15, v18
	s_and_saveexec_b64 s[14:15], vcc
	s_cbranch_execz .LBB13_21
; %bb.20:                               ;   in Loop: Header=BB13_15 Depth=1
	v_cmp_eq_f32_e32 vcc, v15, v18
	s_waitcnt lgkmcnt(0)
	v_cmp_lt_i32_e64 s[0:1], v19, v16
	s_and_b64 s[0:1], vcc, s[0:1]
	s_andn2_b64 s[12:13], s[12:13], exec
	s_and_b64 s[0:1], s[0:1], exec
	s_or_b64 s[12:13], s[12:13], s[0:1]
.LBB13_21:                              ;   in Loop: Header=BB13_15 Depth=1
	s_or_b64 exec, exec, s[14:15]
	s_and_saveexec_b64 s[0:1], s[12:13]
	s_cbranch_execz .LBB13_23
; %bb.22:                               ;   in Loop: Header=BB13_15 Depth=1
	v_mov_b32_e32 v17, v18
	v_mov_b32_e32 v15, v18
	s_waitcnt lgkmcnt(0)
	v_mov_b32_e32 v16, v19
.LBB13_23:                              ;   in Loop: Header=BB13_15 Depth=1
	s_or_b64 exec, exec, s[0:1]
	ds_bpermute_b32 v18, v11, v17
	s_waitcnt lgkmcnt(1)
	ds_bpermute_b32 v19, v11, v16
	s_waitcnt lgkmcnt(1)
	v_cmp_lt_f32_e64 s[12:13], v15, v18
	v_cmp_nlt_f32_e32 vcc, v15, v18
	s_and_saveexec_b64 s[14:15], vcc
	s_cbranch_execz .LBB13_25
; %bb.24:                               ;   in Loop: Header=BB13_15 Depth=1
	v_cmp_eq_f32_e32 vcc, v15, v18
	s_waitcnt lgkmcnt(0)
	v_cmp_lt_i32_e64 s[0:1], v19, v16
	s_and_b64 s[0:1], vcc, s[0:1]
	s_andn2_b64 s[12:13], s[12:13], exec
	s_and_b64 s[0:1], s[0:1], exec
	s_or_b64 s[12:13], s[12:13], s[0:1]
.LBB13_25:                              ;   in Loop: Header=BB13_15 Depth=1
	s_or_b64 exec, exec, s[14:15]
	;; [unrolled: 27-line block ×3, first 2 shown]
	s_and_saveexec_b64 s[0:1], s[12:13]
	s_cbranch_execz .LBB13_31
; %bb.30:                               ;   in Loop: Header=BB13_15 Depth=1
	v_mov_b32_e32 v17, v18
	v_mov_b32_e32 v15, v18
	s_waitcnt lgkmcnt(0)
	v_mov_b32_e32 v16, v19
.LBB13_31:                              ;   in Loop: Header=BB13_15 Depth=1
	s_or_b64 exec, exec, s[0:1]
	ds_bpermute_b32 v17, v13, v17
	ds_bpermute_b32 v18, v13, v16
	s_waitcnt lgkmcnt(1)
	v_cmp_lt_f32_e64 s[12:13], v15, v17
	v_cmp_nlt_f32_e32 vcc, v15, v17
	s_and_saveexec_b64 s[14:15], vcc
	s_cbranch_execz .LBB13_33
; %bb.32:                               ;   in Loop: Header=BB13_15 Depth=1
	v_cmp_eq_f32_e32 vcc, v15, v17
	s_waitcnt lgkmcnt(0)
	v_cmp_lt_i32_e64 s[0:1], v18, v16
	s_and_b64 s[0:1], vcc, s[0:1]
	s_andn2_b64 s[12:13], s[12:13], exec
	s_and_b64 s[0:1], s[0:1], exec
	s_or_b64 s[12:13], s[12:13], s[0:1]
.LBB13_33:                              ;   in Loop: Header=BB13_15 Depth=1
	s_or_b64 exec, exec, s[14:15]
	s_and_saveexec_b64 s[0:1], s[12:13]
	s_cbranch_execz .LBB13_35
; %bb.34:                               ;   in Loop: Header=BB13_15 Depth=1
	v_mov_b32_e32 v15, v17
	s_waitcnt lgkmcnt(0)
	v_mov_b32_e32 v16, v18
.LBB13_35:                              ;   in Loop: Header=BB13_15 Depth=1
	s_or_b64 exec, exec, s[0:1]
	v_and_b32_e32 v17, 31, v16
	v_cmp_eq_u32_e32 vcc, v17, v4
	s_and_saveexec_b64 s[0:1], vcc
	s_cbranch_execz .LBB13_14
; %bb.36:                               ;   in Loop: Header=BB13_15 Depth=1
	v_add_f32_e32 v17, v7, v15
	v_cndmask_b32_e64 v7, v7, v17, s[6:7]
	global_store_dword v[0:1], v16, off
	s_branch .LBB13_14
.LBB13_37:
	s_and_b64 vcc, exec, s[6:7]
	s_cbranch_vccnz .LBB13_42
; %bb.38:
	s_andn2_b64 vcc, exec, s[4:5]
	v_cmp_gt_i32_e64 s[0:1], s9, v4
	s_cbranch_vccz .LBB13_43
.LBB13_39:
	v_cmp_gt_i32_e32 vcc, s9, v4
	s_and_b64 exec, exec, vcc
	s_cbranch_execz .LBB13_41
.LBB13_40:
	v_mul_lo_u32 v0, v2, s9
	v_ashrrev_i32_e32 v1, 31, v0
	v_lshlrev_b64 v[0:1], 2, v[0:1]
	v_mov_b32_e32 v2, s3
	v_add_co_u32_e32 v0, vcc, s2, v0
	v_addc_co_u32_e32 v1, vcc, v2, v1, vcc
	v_add_co_u32_e32 v0, vcc, v0, v3
	v_addc_co_u32_e32 v1, vcc, 0, v1, vcc
	v_mul_f32_e32 v2, s11, v5
	global_store_dword v[0:1], v2, off
.LBB13_41:
	s_endpgm
.LBB13_42:
	v_mbcnt_hi_u32_b32 v0, -1, v6
	v_and_b32_e32 v1, 0x60, v0
	v_add_u32_e32 v1, 32, v1
	s_waitcnt vmcnt(0)
	v_xor_b32_e32 v8, 16, v0
	v_cmp_lt_i32_e32 vcc, v8, v1
	v_cndmask_b32_e32 v8, v0, v8, vcc
	v_lshlrev_b32_e32 v8, 2, v8
	ds_bpermute_b32 v8, v8, v7
	v_xor_b32_e32 v9, 8, v0
	v_cmp_lt_i32_e32 vcc, v9, v1
	s_waitcnt lgkmcnt(0)
	v_add_f32_e32 v7, v7, v8
	v_cndmask_b32_e32 v8, v0, v9, vcc
	v_lshlrev_b32_e32 v8, 2, v8
	ds_bpermute_b32 v8, v8, v7
	v_xor_b32_e32 v9, 4, v0
	v_cmp_lt_i32_e32 vcc, v9, v1
	s_waitcnt lgkmcnt(0)
	v_add_f32_e32 v7, v7, v8
	;; [unrolled: 7-line block ×3, first 2 shown]
	v_cndmask_b32_e32 v8, v0, v9, vcc
	v_lshlrev_b32_e32 v8, 2, v8
	ds_bpermute_b32 v8, v8, v7
	v_xor_b32_e32 v9, 1, v0
	v_cmp_lt_i32_e32 vcc, v9, v1
	v_cndmask_b32_e32 v0, v0, v9, vcc
	v_lshlrev_b32_e32 v0, 2, v0
	s_waitcnt lgkmcnt(0)
	v_add_f32_e32 v7, v7, v8
	ds_bpermute_b32 v0, v0, v7
	v_max_f32_e64 v1, s10, s10
	s_waitcnt lgkmcnt(0)
	v_add_f32_e32 v0, v7, v0
	v_max_f32_e32 v0, v0, v1
	v_div_scale_f32 v1, s[0:1], v0, v0, 1.0
	v_rcp_f32_e32 v7, v1
	v_div_scale_f32 v8, vcc, 1.0, v0, 1.0
	v_fma_f32 v9, -v1, v7, 1.0
	v_fmac_f32_e32 v7, v9, v7
	v_mul_f32_e32 v9, v8, v7
	v_fma_f32 v10, -v1, v9, v8
	v_fmac_f32_e32 v9, v10, v7
	v_fma_f32 v1, -v1, v9, v8
	v_div_fmas_f32 v1, v1, v7, v9
	v_div_fixup_f32 v0, v1, v0, 1.0
	v_mul_f32_e32 v5, v5, v0
	s_andn2_b64 vcc, exec, s[4:5]
	v_cmp_gt_i32_e64 s[0:1], s9, v4
	s_cbranch_vccnz .LBB13_39
.LBB13_43:
	v_max_f32_e32 v0, v5, v5
	v_max_f32_e32 v0, 0xff800000, v0
	v_mov_b32_e32 v1, 0xff800000
	v_cndmask_b32_e64 v0, v1, v0, s[0:1]
	v_mbcnt_hi_u32_b32 v1, -1, v6
	v_and_b32_e32 v6, 0x60, v1
	v_add_u32_e32 v6, 32, v6
	v_xor_b32_e32 v7, 16, v1
	v_cmp_lt_i32_e32 vcc, v7, v6
	v_cndmask_b32_e32 v7, v1, v7, vcc
	v_lshlrev_b32_e32 v7, 2, v7
	s_waitcnt vmcnt(0)
	ds_bpermute_b32 v8, v7, v0
	s_mov_b32 s4, 0x3fb8aa3b
	s_waitcnt lgkmcnt(0)
	v_max_f32_e32 v8, v8, v8
	v_max_f32_e32 v0, v0, v8
	v_xor_b32_e32 v8, 8, v1
	v_cmp_lt_i32_e32 vcc, v8, v6
	v_cndmask_b32_e32 v8, v1, v8, vcc
	v_lshlrev_b32_e32 v8, 2, v8
	ds_bpermute_b32 v9, v8, v0
	s_waitcnt lgkmcnt(0)
	v_max_f32_e32 v9, v9, v9
	v_max_f32_e32 v0, v0, v9
	v_xor_b32_e32 v9, 4, v1
	v_cmp_lt_i32_e32 vcc, v9, v6
	v_cndmask_b32_e32 v9, v1, v9, vcc
	v_lshlrev_b32_e32 v9, 2, v9
	ds_bpermute_b32 v10, v9, v0
	;; [unrolled: 8-line block ×4, first 2 shown]
	s_waitcnt lgkmcnt(0)
	v_max_f32_e32 v1, v1, v1
	v_max_f32_e32 v0, v0, v1
	v_sub_f32_e32 v0, v5, v0
	v_mul_f32_e32 v1, 0x3fb8aa3b, v0
	v_fma_f32 v5, v0, s4, -v1
	v_rndne_f32_e32 v11, v1
	v_fmac_f32_e32 v5, 0x32a5705f, v0
	v_sub_f32_e32 v1, v1, v11
	v_add_f32_e32 v1, v1, v5
	v_exp_f32_e32 v1, v1
	v_cvt_i32_f32_e32 v5, v11
	s_mov_b32 s4, 0xc2ce8ed0
	v_cmp_ngt_f32_e32 vcc, s4, v0
	s_mov_b32 s4, 0x42b17218
	v_ldexp_f32 v1, v1, v5
	v_cndmask_b32_e32 v1, 0, v1, vcc
	v_mov_b32_e32 v5, 0x7f800000
	v_cmp_nlt_f32_e32 vcc, s4, v0
	v_cndmask_b32_e32 v0, v5, v1, vcc
	v_cndmask_b32_e64 v1, 0, v0, s[0:1]
	ds_bpermute_b32 v5, v7, v1
	s_waitcnt lgkmcnt(0)
	v_add_f32_e32 v1, v1, v5
	ds_bpermute_b32 v5, v8, v1
	s_waitcnt lgkmcnt(0)
	v_add_f32_e32 v1, v1, v5
	;; [unrolled: 3-line block ×4, first 2 shown]
	ds_bpermute_b32 v6, v6, v1
	v_mov_b32_e32 v5, 0
	s_and_saveexec_b64 s[4:5], s[0:1]
	s_cbranch_execz .LBB13_45
; %bb.44:
	s_waitcnt lgkmcnt(0)
	v_add_f32_e32 v1, v1, v6
	v_div_scale_f32 v5, s[0:1], v1, v1, 1.0
	v_rcp_f32_e32 v6, v5
	v_div_scale_f32 v7, vcc, 1.0, v1, 1.0
	v_fma_f32 v8, -v5, v6, 1.0
	v_fmac_f32_e32 v6, v8, v6
	v_mul_f32_e32 v8, v7, v6
	v_fma_f32 v9, -v5, v8, v7
	v_fmac_f32_e32 v8, v9, v6
	v_fma_f32 v5, -v5, v8, v7
	v_div_fmas_f32 v5, v5, v6, v8
	v_div_fixup_f32 v1, v5, v1, 1.0
	v_mul_f32_e32 v5, v0, v1
.LBB13_45:
	s_or_b64 exec, exec, s[4:5]
	v_cmp_gt_i32_e32 vcc, s9, v4
	s_and_b64 exec, exec, vcc
	s_cbranch_execnz .LBB13_40
	s_branch .LBB13_41
	.section	.rodata,"a",@progbits
	.p2align	6, 0x0
	.amdhsa_kernel _Z13topk_moe_cudaILi4ELb0EEvPKfPfPiS2_iiff15topk_moe_config
		.amdhsa_group_segment_fixed_size 0
		.amdhsa_private_segment_fixed_size 0
		.amdhsa_kernarg_size 312
		.amdhsa_user_sgpr_count 6
		.amdhsa_user_sgpr_private_segment_buffer 1
		.amdhsa_user_sgpr_dispatch_ptr 0
		.amdhsa_user_sgpr_queue_ptr 0
		.amdhsa_user_sgpr_kernarg_segment_ptr 1
		.amdhsa_user_sgpr_dispatch_id 0
		.amdhsa_user_sgpr_flat_scratch_init 0
		.amdhsa_user_sgpr_kernarg_preload_length 0
		.amdhsa_user_sgpr_kernarg_preload_offset 0
		.amdhsa_user_sgpr_private_segment_size 0
		.amdhsa_uses_dynamic_stack 0
		.amdhsa_system_sgpr_private_segment_wavefront_offset 0
		.amdhsa_system_sgpr_workgroup_id_x 1
		.amdhsa_system_sgpr_workgroup_id_y 0
		.amdhsa_system_sgpr_workgroup_id_z 0
		.amdhsa_system_sgpr_workgroup_info 0
		.amdhsa_system_vgpr_workitem_id 1
		.amdhsa_next_free_vgpr 20
		.amdhsa_next_free_sgpr 16
		.amdhsa_accum_offset 20
		.amdhsa_reserve_vcc 1
		.amdhsa_reserve_flat_scratch 0
		.amdhsa_float_round_mode_32 0
		.amdhsa_float_round_mode_16_64 0
		.amdhsa_float_denorm_mode_32 3
		.amdhsa_float_denorm_mode_16_64 3
		.amdhsa_dx10_clamp 1
		.amdhsa_ieee_mode 1
		.amdhsa_fp16_overflow 0
		.amdhsa_tg_split 0
		.amdhsa_exception_fp_ieee_invalid_op 0
		.amdhsa_exception_fp_denorm_src 0
		.amdhsa_exception_fp_ieee_div_zero 0
		.amdhsa_exception_fp_ieee_overflow 0
		.amdhsa_exception_fp_ieee_underflow 0
		.amdhsa_exception_fp_ieee_inexact 0
		.amdhsa_exception_int_div_zero 0
	.end_amdhsa_kernel
	.section	.text._Z13topk_moe_cudaILi4ELb0EEvPKfPfPiS2_iiff15topk_moe_config,"axG",@progbits,_Z13topk_moe_cudaILi4ELb0EEvPKfPfPiS2_iiff15topk_moe_config,comdat
.Lfunc_end13:
	.size	_Z13topk_moe_cudaILi4ELb0EEvPKfPfPiS2_iiff15topk_moe_config, .Lfunc_end13-_Z13topk_moe_cudaILi4ELb0EEvPKfPfPiS2_iiff15topk_moe_config
                                        ; -- End function
	.section	.AMDGPU.csdata,"",@progbits
; Kernel info:
; codeLenInByte = 2700
; NumSgprs: 20
; NumVgprs: 20
; NumAgprs: 0
; TotalNumVgprs: 20
; ScratchSize: 0
; MemoryBound: 0
; FloatMode: 240
; IeeeMode: 1
; LDSByteSize: 0 bytes/workgroup (compile time only)
; SGPRBlocks: 2
; VGPRBlocks: 2
; NumSGPRsForWavesPerEU: 20
; NumVGPRsForWavesPerEU: 20
; AccumOffset: 20
; Occupancy: 8
; WaveLimiterHint : 0
; COMPUTE_PGM_RSRC2:SCRATCH_EN: 0
; COMPUTE_PGM_RSRC2:USER_SGPR: 6
; COMPUTE_PGM_RSRC2:TRAP_HANDLER: 0
; COMPUTE_PGM_RSRC2:TGID_X_EN: 1
; COMPUTE_PGM_RSRC2:TGID_Y_EN: 0
; COMPUTE_PGM_RSRC2:TGID_Z_EN: 0
; COMPUTE_PGM_RSRC2:TIDIG_COMP_CNT: 1
; COMPUTE_PGM_RSRC3_GFX90A:ACCUM_OFFSET: 4
; COMPUTE_PGM_RSRC3_GFX90A:TG_SPLIT: 0
	.section	.text._Z13topk_moe_cudaILi8ELb0EEvPKfPfPiS2_iiff15topk_moe_config,"axG",@progbits,_Z13topk_moe_cudaILi8ELb0EEvPKfPfPiS2_iiff15topk_moe_config,comdat
	.protected	_Z13topk_moe_cudaILi8ELb0EEvPKfPfPiS2_iiff15topk_moe_config ; -- Begin function _Z13topk_moe_cudaILi8ELb0EEvPKfPfPiS2_iiff15topk_moe_config
	.globl	_Z13topk_moe_cudaILi8ELb0EEvPKfPfPiS2_iiff15topk_moe_config
	.p2align	8
	.type	_Z13topk_moe_cudaILi8ELb0EEvPKfPfPiS2_iiff15topk_moe_config,@function
_Z13topk_moe_cudaILi8ELb0EEvPKfPfPiS2_iiff15topk_moe_config: ; @_Z13topk_moe_cudaILi8ELb0EEvPKfPfPiS2_iiff15topk_moe_config
; %bb.0:
	s_load_dword s0, s[4:5], 0x44
	s_load_dwordx4 s[8:11], s[4:5], 0x20
	v_bfe_u32 v1, v0, 10, 10
	s_waitcnt lgkmcnt(0)
	s_lshr_b32 s0, s0, 16
	s_mul_i32 s6, s6, s0
	v_add_u32_e32 v2, s6, v1
	v_cmp_gt_i32_e32 vcc, s8, v2
	s_and_saveexec_b64 s[0:1], vcc
	s_cbranch_execz .LBB14_41
; %bb.1:
	v_mov_b32_e32 v1, 0
	global_load_ushort v3, v1, s[4:5] offset:48
	global_load_ubyte v5, v1, s[4:5] offset:50
	v_lshlrev_b32_e32 v6, 3, v2
	v_mov_b32_e32 v9, 8
	v_ashrrev_i32_e32 v7, 31, v6
	s_load_dwordx4 s[0:3], s[4:5], 0x0
	s_load_dwordx2 s[12:13], s[4:5], 0x10
	v_and_b32_e32 v4, 0x3ff, v0
	v_lshlrev_b64 v[0:1], 2, v[6:7]
	v_mov_b32_e32 v8, 0xff800000
	v_cmp_gt_u32_e32 vcc, 8, v4
	s_waitcnt vmcnt(1)
	v_lshrrev_b32_sdwa v6, v9, v3 dst_sel:BYTE_1 dst_unused:UNUSED_PAD src0_sel:DWORD src1_sel:DWORD
	v_or_b32_sdwa v3, v3, v6 dst_sel:DWORD dst_unused:UNUSED_PAD src0_sel:BYTE_0 src1_sel:DWORD
	s_waitcnt vmcnt(0)
	v_readfirstlane_b32 s4, v5
	v_readfirstlane_b32 s5, v3
	s_lshl_b32 s4, s4, 16
	s_and_b32 s5, 0xffff, s5
	s_or_b32 s6, s5, s4
	v_lshlrev_b32_e32 v3, 2, v4
	s_and_saveexec_b64 s[4:5], vcc
	s_cbranch_execz .LBB14_3
; %bb.2:
	s_waitcnt lgkmcnt(0)
	v_mov_b32_e32 v5, s1
	v_add_co_u32_e32 v6, vcc, s0, v0
	v_addc_co_u32_e32 v5, vcc, v5, v1, vcc
	v_add_co_u32_e32 v6, vcc, v6, v3
	v_addc_co_u32_e32 v7, vcc, 0, v5, vcc
	global_load_dword v8, v[6:7], off
.LBB14_3:
	s_or_b64 exec, exec, s[4:5]
	s_bitcmp1_b32 s6, 16
	s_cselect_b64 s[4:5], -1, 0
	s_and_b64 vcc, exec, s[4:5]
	s_cbranch_vccnz .LBB14_9
; %bb.4:
	s_bitcmp0_b32 s6, 0
	s_cbranch_scc0 .LBB14_6
; %bb.5:
	v_mbcnt_lo_u32_b32 v6, -1, 0
	v_mbcnt_hi_u32_b32 v6, -1, v6
	v_and_b32_e32 v7, 0x60, v6
	v_add_u32_e32 v7, 32, v7
	v_xor_b32_e32 v9, 16, v6
	v_cmp_lt_i32_e32 vcc, v9, v7
	s_waitcnt vmcnt(0)
	v_max_f32_e32 v5, v8, v8
	v_cndmask_b32_e32 v9, v6, v9, vcc
	v_max_f32_e32 v5, 0xff800000, v5
	v_lshlrev_b32_e32 v9, 2, v9
	ds_bpermute_b32 v10, v9, v5
	s_waitcnt lgkmcnt(0)
	s_mov_b32 s0, 0x3fb8aa3b
	v_max_f32_e32 v10, v10, v10
	v_max_f32_e32 v5, v5, v10
	v_xor_b32_e32 v10, 8, v6
	v_cmp_lt_i32_e32 vcc, v10, v7
	v_cndmask_b32_e32 v10, v6, v10, vcc
	v_lshlrev_b32_e32 v10, 2, v10
	ds_bpermute_b32 v11, v10, v5
	s_waitcnt lgkmcnt(0)
	v_max_f32_e32 v11, v11, v11
	v_max_f32_e32 v5, v5, v11
	v_xor_b32_e32 v11, 4, v6
	v_cmp_lt_i32_e32 vcc, v11, v7
	v_cndmask_b32_e32 v11, v6, v11, vcc
	v_lshlrev_b32_e32 v11, 2, v11
	ds_bpermute_b32 v12, v11, v5
	s_waitcnt lgkmcnt(0)
	;; [unrolled: 8-line block ×4, first 2 shown]
	v_max_f32_e32 v7, v7, v7
	v_max_f32_e32 v5, v5, v7
	v_sub_f32_e32 v5, v8, v5
	v_mul_f32_e32 v7, 0x3fb8aa3b, v5
	v_fma_f32 v13, v5, s0, -v7
	v_rndne_f32_e32 v14, v7
	v_fmac_f32_e32 v13, 0x32a5705f, v5
	v_sub_f32_e32 v7, v7, v14
	v_add_f32_e32 v7, v7, v13
	v_exp_f32_e32 v7, v7
	v_cvt_i32_f32_e32 v13, v14
	s_mov_b32 s0, 0xc2ce8ed0
	v_cmp_ngt_f32_e32 vcc, s0, v5
	s_mov_b32 s0, 0x42b17218
	v_ldexp_f32 v7, v7, v13
	v_cndmask_b32_e32 v7, 0, v7, vcc
	v_mov_b32_e32 v13, 0x7f800000
	v_cmp_nlt_f32_e32 vcc, s0, v5
	v_cndmask_b32_e32 v5, v13, v7, vcc
	ds_bpermute_b32 v7, v9, v5
	s_waitcnt lgkmcnt(0)
	v_add_f32_e32 v7, v5, v7
	ds_bpermute_b32 v9, v10, v7
	s_waitcnt lgkmcnt(0)
	v_add_f32_e32 v7, v7, v9
	;; [unrolled: 3-line block ×5, first 2 shown]
	v_div_scale_f32 v7, s[0:1], v6, v6, 1.0
	v_rcp_f32_e32 v9, v7
	v_div_scale_f32 v10, vcc, 1.0, v6, 1.0
	v_fma_f32 v11, -v7, v9, 1.0
	v_fmac_f32_e32 v9, v11, v9
	v_mul_f32_e32 v11, v10, v9
	v_fma_f32 v12, -v7, v11, v10
	v_fmac_f32_e32 v11, v12, v9
	v_fma_f32 v7, -v7, v11, v10
	v_div_fmas_f32 v7, v7, v9, v11
	v_div_fixup_f32 v6, v7, v6, 1.0
	v_mul_f32_e32 v5, v5, v6
	s_cbranch_execz .LBB14_7
	s_branch .LBB14_8
.LBB14_6:
	s_waitcnt lgkmcnt(0)
                                        ; implicit-def: $vgpr5
.LBB14_7:
	s_waitcnt vmcnt(0)
	v_mul_f32_e32 v5, 0xbfb8aa3b, v8
	s_mov_b32 s0, 0xbfb8aa3b
	v_rndne_f32_e32 v6, v5
	v_sub_f32_e32 v7, v5, v6
	v_fma_f32 v5, v8, s0, -v5
	v_fmac_f32_e32 v5, 0xb2a5705f, v8
	v_add_f32_e32 v5, v7, v5
	v_exp_f32_e32 v5, v5
	v_cvt_i32_f32_e32 v6, v6
	s_mov_b32 s0, 0x42ce8ed0
	v_cmp_nlt_f32_e32 vcc, s0, v8
	s_mov_b32 s0, 0xc2b17218
	v_ldexp_f32 v5, v5, v6
	v_cndmask_b32_e32 v5, 0, v5, vcc
	v_mov_b32_e32 v6, 0x7f800000
	v_cmp_ngt_f32_e32 vcc, s0, v8
	v_cndmask_b32_e32 v5, v6, v5, vcc
	v_add_f32_e32 v5, 1.0, v5
	v_div_scale_f32 v6, s[0:1], v5, v5, 1.0
	v_rcp_f32_e32 v7, v6
	v_fma_f32 v8, -v6, v7, 1.0
	v_fmac_f32_e32 v7, v8, v7
	v_div_scale_f32 v8, vcc, 1.0, v5, 1.0
	v_mul_f32_e32 v9, v8, v7
	v_fma_f32 v10, -v6, v9, v8
	v_fmac_f32_e32 v9, v10, v7
	v_fma_f32 v6, -v6, v9, v8
	v_div_fmas_f32 v6, v6, v7, v9
	v_div_fixup_f32 v5, v6, v5, 1.0
.LBB14_8:
	s_waitcnt vmcnt(0)
	v_mov_b32_e32 v8, v5
.LBB14_9:
	s_lshr_b32 s14, s6, 8
	s_cmp_gt_i32 s9, 0
	s_mov_b32 s8, 0
	s_cbranch_scc1 .LBB14_11
; %bb.10:
	s_bitcmp1_b32 s14, 0
	s_waitcnt lgkmcnt(0)
	s_mov_b64 s[0:1], 0
	s_cselect_b64 s[6:7], -1, 0
	s_branch .LBB14_12
.LBB14_11:
	s_waitcnt lgkmcnt(0)
	s_mov_b64 s[0:1], -1
                                        ; implicit-def: $sgpr8
                                        ; implicit-def: $sgpr6_sgpr7
.LBB14_12:
	s_andn2_b64 vcc, exec, s[0:1]
	v_mov_b32_e32 v7, s8
	v_mbcnt_lo_u32_b32 v6, -1, 0
	v_mov_b32_e32 v5, s8
	s_cbranch_vccnz .LBB14_37
; %bb.13:
	v_mov_b32_e32 v5, s13
	v_add_co_u32_e32 v0, vcc, s12, v0
	v_addc_co_u32_e32 v1, vcc, v5, v1, vcc
	v_mov_b32_e32 v5, 0xff7fffff
	s_waitcnt vmcnt(0)
	v_cmp_o_f32_e32 vcc, v8, v8
	v_cndmask_b32_e32 v8, v5, v8, vcc
	v_mbcnt_hi_u32_b32 v5, -1, v6
	v_and_b32_e32 v7, 0x60, v5
	v_add_u32_e32 v7, 32, v7
	v_xor_b32_e32 v9, 16, v5
	v_cmp_lt_i32_e32 vcc, v9, v7
	v_xor_b32_e32 v10, 8, v5
	v_cndmask_b32_e32 v9, v5, v9, vcc
	v_cmp_lt_i32_e32 vcc, v10, v7
	v_xor_b32_e32 v11, 4, v5
	v_cndmask_b32_e32 v10, v5, v10, vcc
	;; [unrolled: 3-line block ×4, first 2 shown]
	v_cmp_lt_i32_e32 vcc, v13, v7
	s_bitcmp1_b32 s14, 0
	v_cndmask_b32_e32 v5, v5, v13, vcc
	s_mov_b32 s8, 0
	s_cselect_b64 s[6:7], -1, 0
	v_lshlrev_b32_e32 v9, 2, v9
	v_lshlrev_b32_e32 v10, 2, v10
	;; [unrolled: 1-line block ×5, first 2 shown]
	v_mov_b32_e32 v7, 0
	v_mov_b32_e32 v14, 0xff800000
	;; [unrolled: 1-line block ×3, first 2 shown]
	s_branch .LBB14_15
.LBB14_14:                              ;   in Loop: Header=BB14_15 Depth=1
	s_or_b64 exec, exec, s[0:1]
	s_and_b32 s0, s8, 31
	v_cndmask_b32_e32 v8, v8, v14, vcc
	v_cmp_eq_u32_e32 vcc, s0, v4
	v_cndmask_b32_e32 v5, v5, v15, vcc
	s_add_i32 s8, s8, 1
	v_add_co_u32_e32 v0, vcc, 4, v0
	s_cmp_eq_u32 s9, s8
	v_addc_co_u32_e32 v1, vcc, 0, v1, vcc
	s_cbranch_scc1 .LBB14_37
.LBB14_15:                              ; =>This Inner Loop Header: Depth=1
	s_waitcnt lgkmcnt(0)
	ds_bpermute_b32 v18, v9, v8
	ds_bpermute_b32 v19, v9, v4
                                        ; implicit-def: $vgpr17
	s_waitcnt lgkmcnt(1)
	v_cmp_lt_f32_e64 s[12:13], v8, v18
	v_cmp_nlt_f32_e32 vcc, v8, v18
	s_and_saveexec_b64 s[14:15], vcc
	s_cbranch_execz .LBB14_17
; %bb.16:                               ;   in Loop: Header=BB14_15 Depth=1
	v_cmp_eq_f32_e32 vcc, v8, v18
	s_waitcnt lgkmcnt(0)
	v_cmp_lt_i32_e64 s[0:1], v19, v4
	s_and_b64 s[0:1], vcc, s[0:1]
	s_andn2_b64 s[12:13], s[12:13], exec
	s_and_b64 s[0:1], s[0:1], exec
	s_or_b64 s[12:13], s[12:13], s[0:1]
	v_mov_b32_e32 v17, v8
.LBB14_17:                              ;   in Loop: Header=BB14_15 Depth=1
	s_or_b64 exec, exec, s[14:15]
	v_mov_b32_e32 v15, v8
	v_mov_b32_e32 v16, v4
	s_and_saveexec_b64 s[0:1], s[12:13]
	s_cbranch_execz .LBB14_19
; %bb.18:                               ;   in Loop: Header=BB14_15 Depth=1
	v_mov_b32_e32 v17, v18
	v_mov_b32_e32 v15, v18
	s_waitcnt lgkmcnt(0)
	v_mov_b32_e32 v16, v19
.LBB14_19:                              ;   in Loop: Header=BB14_15 Depth=1
	s_or_b64 exec, exec, s[0:1]
	ds_bpermute_b32 v18, v10, v17
	s_waitcnt lgkmcnt(1)
	ds_bpermute_b32 v19, v10, v16
	s_waitcnt lgkmcnt(1)
	v_cmp_lt_f32_e64 s[12:13], v15, v18
	v_cmp_nlt_f32_e32 vcc, v15, v18
	s_and_saveexec_b64 s[14:15], vcc
	s_cbranch_execz .LBB14_21
; %bb.20:                               ;   in Loop: Header=BB14_15 Depth=1
	v_cmp_eq_f32_e32 vcc, v15, v18
	s_waitcnt lgkmcnt(0)
	v_cmp_lt_i32_e64 s[0:1], v19, v16
	s_and_b64 s[0:1], vcc, s[0:1]
	s_andn2_b64 s[12:13], s[12:13], exec
	s_and_b64 s[0:1], s[0:1], exec
	s_or_b64 s[12:13], s[12:13], s[0:1]
.LBB14_21:                              ;   in Loop: Header=BB14_15 Depth=1
	s_or_b64 exec, exec, s[14:15]
	s_and_saveexec_b64 s[0:1], s[12:13]
	s_cbranch_execz .LBB14_23
; %bb.22:                               ;   in Loop: Header=BB14_15 Depth=1
	v_mov_b32_e32 v17, v18
	v_mov_b32_e32 v15, v18
	s_waitcnt lgkmcnt(0)
	v_mov_b32_e32 v16, v19
.LBB14_23:                              ;   in Loop: Header=BB14_15 Depth=1
	s_or_b64 exec, exec, s[0:1]
	ds_bpermute_b32 v18, v11, v17
	s_waitcnt lgkmcnt(1)
	ds_bpermute_b32 v19, v11, v16
	s_waitcnt lgkmcnt(1)
	v_cmp_lt_f32_e64 s[12:13], v15, v18
	v_cmp_nlt_f32_e32 vcc, v15, v18
	s_and_saveexec_b64 s[14:15], vcc
	s_cbranch_execz .LBB14_25
; %bb.24:                               ;   in Loop: Header=BB14_15 Depth=1
	v_cmp_eq_f32_e32 vcc, v15, v18
	s_waitcnt lgkmcnt(0)
	v_cmp_lt_i32_e64 s[0:1], v19, v16
	s_and_b64 s[0:1], vcc, s[0:1]
	s_andn2_b64 s[12:13], s[12:13], exec
	s_and_b64 s[0:1], s[0:1], exec
	s_or_b64 s[12:13], s[12:13], s[0:1]
.LBB14_25:                              ;   in Loop: Header=BB14_15 Depth=1
	s_or_b64 exec, exec, s[14:15]
	;; [unrolled: 27-line block ×3, first 2 shown]
	s_and_saveexec_b64 s[0:1], s[12:13]
	s_cbranch_execz .LBB14_31
; %bb.30:                               ;   in Loop: Header=BB14_15 Depth=1
	v_mov_b32_e32 v17, v18
	v_mov_b32_e32 v15, v18
	s_waitcnt lgkmcnt(0)
	v_mov_b32_e32 v16, v19
.LBB14_31:                              ;   in Loop: Header=BB14_15 Depth=1
	s_or_b64 exec, exec, s[0:1]
	ds_bpermute_b32 v17, v13, v17
	ds_bpermute_b32 v18, v13, v16
	s_waitcnt lgkmcnt(1)
	v_cmp_lt_f32_e64 s[12:13], v15, v17
	v_cmp_nlt_f32_e32 vcc, v15, v17
	s_and_saveexec_b64 s[14:15], vcc
	s_cbranch_execz .LBB14_33
; %bb.32:                               ;   in Loop: Header=BB14_15 Depth=1
	v_cmp_eq_f32_e32 vcc, v15, v17
	s_waitcnt lgkmcnt(0)
	v_cmp_lt_i32_e64 s[0:1], v18, v16
	s_and_b64 s[0:1], vcc, s[0:1]
	s_andn2_b64 s[12:13], s[12:13], exec
	s_and_b64 s[0:1], s[0:1], exec
	s_or_b64 s[12:13], s[12:13], s[0:1]
.LBB14_33:                              ;   in Loop: Header=BB14_15 Depth=1
	s_or_b64 exec, exec, s[14:15]
	s_and_saveexec_b64 s[0:1], s[12:13]
	s_cbranch_execz .LBB14_35
; %bb.34:                               ;   in Loop: Header=BB14_15 Depth=1
	v_mov_b32_e32 v15, v17
	s_waitcnt lgkmcnt(0)
	v_mov_b32_e32 v16, v18
.LBB14_35:                              ;   in Loop: Header=BB14_15 Depth=1
	s_or_b64 exec, exec, s[0:1]
	v_and_b32_e32 v17, 31, v16
	v_cmp_eq_u32_e32 vcc, v17, v4
	s_and_saveexec_b64 s[0:1], vcc
	s_cbranch_execz .LBB14_14
; %bb.36:                               ;   in Loop: Header=BB14_15 Depth=1
	v_add_f32_e32 v17, v7, v15
	v_cndmask_b32_e64 v7, v7, v17, s[6:7]
	global_store_dword v[0:1], v16, off
	s_branch .LBB14_14
.LBB14_37:
	s_and_b64 vcc, exec, s[6:7]
	s_cbranch_vccnz .LBB14_42
; %bb.38:
	s_andn2_b64 vcc, exec, s[4:5]
	v_cmp_gt_i32_e64 s[0:1], s9, v4
	s_cbranch_vccz .LBB14_43
.LBB14_39:
	v_cmp_gt_i32_e32 vcc, s9, v4
	s_and_b64 exec, exec, vcc
	s_cbranch_execz .LBB14_41
.LBB14_40:
	v_mul_lo_u32 v0, v2, s9
	v_ashrrev_i32_e32 v1, 31, v0
	v_lshlrev_b64 v[0:1], 2, v[0:1]
	v_mov_b32_e32 v2, s3
	v_add_co_u32_e32 v0, vcc, s2, v0
	v_addc_co_u32_e32 v1, vcc, v2, v1, vcc
	v_add_co_u32_e32 v0, vcc, v0, v3
	v_addc_co_u32_e32 v1, vcc, 0, v1, vcc
	v_mul_f32_e32 v2, s11, v5
	global_store_dword v[0:1], v2, off
.LBB14_41:
	s_endpgm
.LBB14_42:
	v_mbcnt_hi_u32_b32 v0, -1, v6
	v_and_b32_e32 v1, 0x60, v0
	v_add_u32_e32 v1, 32, v1
	s_waitcnt vmcnt(0)
	v_xor_b32_e32 v8, 16, v0
	v_cmp_lt_i32_e32 vcc, v8, v1
	v_cndmask_b32_e32 v8, v0, v8, vcc
	v_lshlrev_b32_e32 v8, 2, v8
	ds_bpermute_b32 v8, v8, v7
	v_xor_b32_e32 v9, 8, v0
	v_cmp_lt_i32_e32 vcc, v9, v1
	s_waitcnt lgkmcnt(0)
	v_add_f32_e32 v7, v7, v8
	v_cndmask_b32_e32 v8, v0, v9, vcc
	v_lshlrev_b32_e32 v8, 2, v8
	ds_bpermute_b32 v8, v8, v7
	v_xor_b32_e32 v9, 4, v0
	v_cmp_lt_i32_e32 vcc, v9, v1
	s_waitcnt lgkmcnt(0)
	v_add_f32_e32 v7, v7, v8
	;; [unrolled: 7-line block ×3, first 2 shown]
	v_cndmask_b32_e32 v8, v0, v9, vcc
	v_lshlrev_b32_e32 v8, 2, v8
	ds_bpermute_b32 v8, v8, v7
	v_xor_b32_e32 v9, 1, v0
	v_cmp_lt_i32_e32 vcc, v9, v1
	v_cndmask_b32_e32 v0, v0, v9, vcc
	v_lshlrev_b32_e32 v0, 2, v0
	s_waitcnt lgkmcnt(0)
	v_add_f32_e32 v7, v7, v8
	ds_bpermute_b32 v0, v0, v7
	v_max_f32_e64 v1, s10, s10
	s_waitcnt lgkmcnt(0)
	v_add_f32_e32 v0, v7, v0
	v_max_f32_e32 v0, v0, v1
	v_div_scale_f32 v1, s[0:1], v0, v0, 1.0
	v_rcp_f32_e32 v7, v1
	v_div_scale_f32 v8, vcc, 1.0, v0, 1.0
	v_fma_f32 v9, -v1, v7, 1.0
	v_fmac_f32_e32 v7, v9, v7
	v_mul_f32_e32 v9, v8, v7
	v_fma_f32 v10, -v1, v9, v8
	v_fmac_f32_e32 v9, v10, v7
	v_fma_f32 v1, -v1, v9, v8
	v_div_fmas_f32 v1, v1, v7, v9
	v_div_fixup_f32 v0, v1, v0, 1.0
	v_mul_f32_e32 v5, v5, v0
	s_andn2_b64 vcc, exec, s[4:5]
	v_cmp_gt_i32_e64 s[0:1], s9, v4
	s_cbranch_vccnz .LBB14_39
.LBB14_43:
	v_max_f32_e32 v0, v5, v5
	v_max_f32_e32 v0, 0xff800000, v0
	v_mov_b32_e32 v1, 0xff800000
	v_cndmask_b32_e64 v0, v1, v0, s[0:1]
	v_mbcnt_hi_u32_b32 v1, -1, v6
	v_and_b32_e32 v6, 0x60, v1
	v_add_u32_e32 v6, 32, v6
	v_xor_b32_e32 v7, 16, v1
	v_cmp_lt_i32_e32 vcc, v7, v6
	v_cndmask_b32_e32 v7, v1, v7, vcc
	v_lshlrev_b32_e32 v7, 2, v7
	s_waitcnt vmcnt(0)
	ds_bpermute_b32 v8, v7, v0
	s_mov_b32 s4, 0x3fb8aa3b
	s_waitcnt lgkmcnt(0)
	v_max_f32_e32 v8, v8, v8
	v_max_f32_e32 v0, v0, v8
	v_xor_b32_e32 v8, 8, v1
	v_cmp_lt_i32_e32 vcc, v8, v6
	v_cndmask_b32_e32 v8, v1, v8, vcc
	v_lshlrev_b32_e32 v8, 2, v8
	ds_bpermute_b32 v9, v8, v0
	s_waitcnt lgkmcnt(0)
	v_max_f32_e32 v9, v9, v9
	v_max_f32_e32 v0, v0, v9
	v_xor_b32_e32 v9, 4, v1
	v_cmp_lt_i32_e32 vcc, v9, v6
	v_cndmask_b32_e32 v9, v1, v9, vcc
	v_lshlrev_b32_e32 v9, 2, v9
	ds_bpermute_b32 v10, v9, v0
	;; [unrolled: 8-line block ×4, first 2 shown]
	s_waitcnt lgkmcnt(0)
	v_max_f32_e32 v1, v1, v1
	v_max_f32_e32 v0, v0, v1
	v_sub_f32_e32 v0, v5, v0
	v_mul_f32_e32 v1, 0x3fb8aa3b, v0
	v_fma_f32 v5, v0, s4, -v1
	v_rndne_f32_e32 v11, v1
	v_fmac_f32_e32 v5, 0x32a5705f, v0
	v_sub_f32_e32 v1, v1, v11
	v_add_f32_e32 v1, v1, v5
	v_exp_f32_e32 v1, v1
	v_cvt_i32_f32_e32 v5, v11
	s_mov_b32 s4, 0xc2ce8ed0
	v_cmp_ngt_f32_e32 vcc, s4, v0
	s_mov_b32 s4, 0x42b17218
	v_ldexp_f32 v1, v1, v5
	v_cndmask_b32_e32 v1, 0, v1, vcc
	v_mov_b32_e32 v5, 0x7f800000
	v_cmp_nlt_f32_e32 vcc, s4, v0
	v_cndmask_b32_e32 v0, v5, v1, vcc
	v_cndmask_b32_e64 v1, 0, v0, s[0:1]
	ds_bpermute_b32 v5, v7, v1
	s_waitcnt lgkmcnt(0)
	v_add_f32_e32 v1, v1, v5
	ds_bpermute_b32 v5, v8, v1
	s_waitcnt lgkmcnt(0)
	v_add_f32_e32 v1, v1, v5
	ds_bpermute_b32 v5, v9, v1
	s_waitcnt lgkmcnt(0)
	v_add_f32_e32 v1, v1, v5
	ds_bpermute_b32 v5, v10, v1
	s_waitcnt lgkmcnt(0)
	v_add_f32_e32 v1, v1, v5
	ds_bpermute_b32 v6, v6, v1
	v_mov_b32_e32 v5, 0
	s_and_saveexec_b64 s[4:5], s[0:1]
	s_cbranch_execz .LBB14_45
; %bb.44:
	s_waitcnt lgkmcnt(0)
	v_add_f32_e32 v1, v1, v6
	v_div_scale_f32 v5, s[0:1], v1, v1, 1.0
	v_rcp_f32_e32 v6, v5
	v_div_scale_f32 v7, vcc, 1.0, v1, 1.0
	v_fma_f32 v8, -v5, v6, 1.0
	v_fmac_f32_e32 v6, v8, v6
	v_mul_f32_e32 v8, v7, v6
	v_fma_f32 v9, -v5, v8, v7
	v_fmac_f32_e32 v8, v9, v6
	v_fma_f32 v5, -v5, v8, v7
	v_div_fmas_f32 v5, v5, v6, v8
	v_div_fixup_f32 v1, v5, v1, 1.0
	v_mul_f32_e32 v5, v0, v1
.LBB14_45:
	s_or_b64 exec, exec, s[4:5]
	v_cmp_gt_i32_e32 vcc, s9, v4
	s_and_b64 exec, exec, vcc
	s_cbranch_execnz .LBB14_40
	s_branch .LBB14_41
	.section	.rodata,"a",@progbits
	.p2align	6, 0x0
	.amdhsa_kernel _Z13topk_moe_cudaILi8ELb0EEvPKfPfPiS2_iiff15topk_moe_config
		.amdhsa_group_segment_fixed_size 0
		.amdhsa_private_segment_fixed_size 0
		.amdhsa_kernarg_size 312
		.amdhsa_user_sgpr_count 6
		.amdhsa_user_sgpr_private_segment_buffer 1
		.amdhsa_user_sgpr_dispatch_ptr 0
		.amdhsa_user_sgpr_queue_ptr 0
		.amdhsa_user_sgpr_kernarg_segment_ptr 1
		.amdhsa_user_sgpr_dispatch_id 0
		.amdhsa_user_sgpr_flat_scratch_init 0
		.amdhsa_user_sgpr_kernarg_preload_length 0
		.amdhsa_user_sgpr_kernarg_preload_offset 0
		.amdhsa_user_sgpr_private_segment_size 0
		.amdhsa_uses_dynamic_stack 0
		.amdhsa_system_sgpr_private_segment_wavefront_offset 0
		.amdhsa_system_sgpr_workgroup_id_x 1
		.amdhsa_system_sgpr_workgroup_id_y 0
		.amdhsa_system_sgpr_workgroup_id_z 0
		.amdhsa_system_sgpr_workgroup_info 0
		.amdhsa_system_vgpr_workitem_id 1
		.amdhsa_next_free_vgpr 20
		.amdhsa_next_free_sgpr 16
		.amdhsa_accum_offset 20
		.amdhsa_reserve_vcc 1
		.amdhsa_reserve_flat_scratch 0
		.amdhsa_float_round_mode_32 0
		.amdhsa_float_round_mode_16_64 0
		.amdhsa_float_denorm_mode_32 3
		.amdhsa_float_denorm_mode_16_64 3
		.amdhsa_dx10_clamp 1
		.amdhsa_ieee_mode 1
		.amdhsa_fp16_overflow 0
		.amdhsa_tg_split 0
		.amdhsa_exception_fp_ieee_invalid_op 0
		.amdhsa_exception_fp_denorm_src 0
		.amdhsa_exception_fp_ieee_div_zero 0
		.amdhsa_exception_fp_ieee_overflow 0
		.amdhsa_exception_fp_ieee_underflow 0
		.amdhsa_exception_fp_ieee_inexact 0
		.amdhsa_exception_int_div_zero 0
	.end_amdhsa_kernel
	.section	.text._Z13topk_moe_cudaILi8ELb0EEvPKfPfPiS2_iiff15topk_moe_config,"axG",@progbits,_Z13topk_moe_cudaILi8ELb0EEvPKfPfPiS2_iiff15topk_moe_config,comdat
.Lfunc_end14:
	.size	_Z13topk_moe_cudaILi8ELb0EEvPKfPfPiS2_iiff15topk_moe_config, .Lfunc_end14-_Z13topk_moe_cudaILi8ELb0EEvPKfPfPiS2_iiff15topk_moe_config
                                        ; -- End function
	.section	.AMDGPU.csdata,"",@progbits
; Kernel info:
; codeLenInByte = 2700
; NumSgprs: 20
; NumVgprs: 20
; NumAgprs: 0
; TotalNumVgprs: 20
; ScratchSize: 0
; MemoryBound: 0
; FloatMode: 240
; IeeeMode: 1
; LDSByteSize: 0 bytes/workgroup (compile time only)
; SGPRBlocks: 2
; VGPRBlocks: 2
; NumSGPRsForWavesPerEU: 20
; NumVGPRsForWavesPerEU: 20
; AccumOffset: 20
; Occupancy: 8
; WaveLimiterHint : 0
; COMPUTE_PGM_RSRC2:SCRATCH_EN: 0
; COMPUTE_PGM_RSRC2:USER_SGPR: 6
; COMPUTE_PGM_RSRC2:TRAP_HANDLER: 0
; COMPUTE_PGM_RSRC2:TGID_X_EN: 1
; COMPUTE_PGM_RSRC2:TGID_Y_EN: 0
; COMPUTE_PGM_RSRC2:TGID_Z_EN: 0
; COMPUTE_PGM_RSRC2:TIDIG_COMP_CNT: 1
; COMPUTE_PGM_RSRC3_GFX90A:ACCUM_OFFSET: 4
; COMPUTE_PGM_RSRC3_GFX90A:TG_SPLIT: 0
	.section	.text._Z13topk_moe_cudaILi16ELb0EEvPKfPfPiS2_iiff15topk_moe_config,"axG",@progbits,_Z13topk_moe_cudaILi16ELb0EEvPKfPfPiS2_iiff15topk_moe_config,comdat
	.protected	_Z13topk_moe_cudaILi16ELb0EEvPKfPfPiS2_iiff15topk_moe_config ; -- Begin function _Z13topk_moe_cudaILi16ELb0EEvPKfPfPiS2_iiff15topk_moe_config
	.globl	_Z13topk_moe_cudaILi16ELb0EEvPKfPfPiS2_iiff15topk_moe_config
	.p2align	8
	.type	_Z13topk_moe_cudaILi16ELb0EEvPKfPfPiS2_iiff15topk_moe_config,@function
_Z13topk_moe_cudaILi16ELb0EEvPKfPfPiS2_iiff15topk_moe_config: ; @_Z13topk_moe_cudaILi16ELb0EEvPKfPfPiS2_iiff15topk_moe_config
; %bb.0:
	s_load_dword s0, s[4:5], 0x44
	s_load_dwordx4 s[8:11], s[4:5], 0x20
	v_bfe_u32 v1, v0, 10, 10
	s_waitcnt lgkmcnt(0)
	s_lshr_b32 s0, s0, 16
	s_mul_i32 s6, s6, s0
	v_add_u32_e32 v2, s6, v1
	v_cmp_gt_i32_e32 vcc, s8, v2
	s_and_saveexec_b64 s[0:1], vcc
	s_cbranch_execz .LBB15_41
; %bb.1:
	v_mov_b32_e32 v1, 0
	global_load_ushort v3, v1, s[4:5] offset:48
	global_load_ubyte v5, v1, s[4:5] offset:50
	v_lshlrev_b32_e32 v6, 4, v2
	v_mov_b32_e32 v9, 8
	v_ashrrev_i32_e32 v7, 31, v6
	s_load_dwordx4 s[0:3], s[4:5], 0x0
	s_load_dwordx2 s[12:13], s[4:5], 0x10
	v_and_b32_e32 v4, 0x3ff, v0
	v_lshlrev_b64 v[0:1], 2, v[6:7]
	v_mov_b32_e32 v8, 0xff800000
	v_cmp_gt_u32_e32 vcc, 16, v4
	s_waitcnt vmcnt(1)
	v_lshrrev_b32_sdwa v6, v9, v3 dst_sel:BYTE_1 dst_unused:UNUSED_PAD src0_sel:DWORD src1_sel:DWORD
	v_or_b32_sdwa v3, v3, v6 dst_sel:DWORD dst_unused:UNUSED_PAD src0_sel:BYTE_0 src1_sel:DWORD
	s_waitcnt vmcnt(0)
	v_readfirstlane_b32 s4, v5
	v_readfirstlane_b32 s5, v3
	s_lshl_b32 s4, s4, 16
	s_and_b32 s5, 0xffff, s5
	s_or_b32 s6, s5, s4
	v_lshlrev_b32_e32 v3, 2, v4
	s_and_saveexec_b64 s[4:5], vcc
	s_cbranch_execz .LBB15_3
; %bb.2:
	s_waitcnt lgkmcnt(0)
	v_mov_b32_e32 v5, s1
	v_add_co_u32_e32 v6, vcc, s0, v0
	v_addc_co_u32_e32 v5, vcc, v5, v1, vcc
	v_add_co_u32_e32 v6, vcc, v6, v3
	v_addc_co_u32_e32 v7, vcc, 0, v5, vcc
	global_load_dword v8, v[6:7], off
.LBB15_3:
	s_or_b64 exec, exec, s[4:5]
	s_bitcmp1_b32 s6, 16
	s_cselect_b64 s[4:5], -1, 0
	s_and_b64 vcc, exec, s[4:5]
	s_cbranch_vccnz .LBB15_9
; %bb.4:
	s_bitcmp0_b32 s6, 0
	s_cbranch_scc0 .LBB15_6
; %bb.5:
	v_mbcnt_lo_u32_b32 v6, -1, 0
	v_mbcnt_hi_u32_b32 v6, -1, v6
	v_and_b32_e32 v7, 0x60, v6
	v_add_u32_e32 v7, 32, v7
	v_xor_b32_e32 v9, 16, v6
	v_cmp_lt_i32_e32 vcc, v9, v7
	s_waitcnt vmcnt(0)
	v_max_f32_e32 v5, v8, v8
	v_cndmask_b32_e32 v9, v6, v9, vcc
	v_max_f32_e32 v5, 0xff800000, v5
	v_lshlrev_b32_e32 v9, 2, v9
	ds_bpermute_b32 v10, v9, v5
	s_waitcnt lgkmcnt(0)
	s_mov_b32 s0, 0x3fb8aa3b
	v_max_f32_e32 v10, v10, v10
	v_max_f32_e32 v5, v5, v10
	v_xor_b32_e32 v10, 8, v6
	v_cmp_lt_i32_e32 vcc, v10, v7
	v_cndmask_b32_e32 v10, v6, v10, vcc
	v_lshlrev_b32_e32 v10, 2, v10
	ds_bpermute_b32 v11, v10, v5
	s_waitcnt lgkmcnt(0)
	v_max_f32_e32 v11, v11, v11
	v_max_f32_e32 v5, v5, v11
	v_xor_b32_e32 v11, 4, v6
	v_cmp_lt_i32_e32 vcc, v11, v7
	v_cndmask_b32_e32 v11, v6, v11, vcc
	v_lshlrev_b32_e32 v11, 2, v11
	ds_bpermute_b32 v12, v11, v5
	s_waitcnt lgkmcnt(0)
	;; [unrolled: 8-line block ×4, first 2 shown]
	v_max_f32_e32 v7, v7, v7
	v_max_f32_e32 v5, v5, v7
	v_sub_f32_e32 v5, v8, v5
	v_mul_f32_e32 v7, 0x3fb8aa3b, v5
	v_fma_f32 v13, v5, s0, -v7
	v_rndne_f32_e32 v14, v7
	v_fmac_f32_e32 v13, 0x32a5705f, v5
	v_sub_f32_e32 v7, v7, v14
	v_add_f32_e32 v7, v7, v13
	v_exp_f32_e32 v7, v7
	v_cvt_i32_f32_e32 v13, v14
	s_mov_b32 s0, 0xc2ce8ed0
	v_cmp_ngt_f32_e32 vcc, s0, v5
	s_mov_b32 s0, 0x42b17218
	v_ldexp_f32 v7, v7, v13
	v_cndmask_b32_e32 v7, 0, v7, vcc
	v_mov_b32_e32 v13, 0x7f800000
	v_cmp_nlt_f32_e32 vcc, s0, v5
	v_cndmask_b32_e32 v5, v13, v7, vcc
	ds_bpermute_b32 v7, v9, v5
	s_waitcnt lgkmcnt(0)
	v_add_f32_e32 v7, v5, v7
	ds_bpermute_b32 v9, v10, v7
	s_waitcnt lgkmcnt(0)
	v_add_f32_e32 v7, v7, v9
	;; [unrolled: 3-line block ×5, first 2 shown]
	v_div_scale_f32 v7, s[0:1], v6, v6, 1.0
	v_rcp_f32_e32 v9, v7
	v_div_scale_f32 v10, vcc, 1.0, v6, 1.0
	v_fma_f32 v11, -v7, v9, 1.0
	v_fmac_f32_e32 v9, v11, v9
	v_mul_f32_e32 v11, v10, v9
	v_fma_f32 v12, -v7, v11, v10
	v_fmac_f32_e32 v11, v12, v9
	v_fma_f32 v7, -v7, v11, v10
	v_div_fmas_f32 v7, v7, v9, v11
	v_div_fixup_f32 v6, v7, v6, 1.0
	v_mul_f32_e32 v5, v5, v6
	s_cbranch_execz .LBB15_7
	s_branch .LBB15_8
.LBB15_6:
	s_waitcnt lgkmcnt(0)
                                        ; implicit-def: $vgpr5
.LBB15_7:
	s_waitcnt vmcnt(0)
	v_mul_f32_e32 v5, 0xbfb8aa3b, v8
	s_mov_b32 s0, 0xbfb8aa3b
	v_rndne_f32_e32 v6, v5
	v_sub_f32_e32 v7, v5, v6
	v_fma_f32 v5, v8, s0, -v5
	v_fmac_f32_e32 v5, 0xb2a5705f, v8
	v_add_f32_e32 v5, v7, v5
	v_exp_f32_e32 v5, v5
	v_cvt_i32_f32_e32 v6, v6
	s_mov_b32 s0, 0x42ce8ed0
	v_cmp_nlt_f32_e32 vcc, s0, v8
	s_mov_b32 s0, 0xc2b17218
	v_ldexp_f32 v5, v5, v6
	v_cndmask_b32_e32 v5, 0, v5, vcc
	v_mov_b32_e32 v6, 0x7f800000
	v_cmp_ngt_f32_e32 vcc, s0, v8
	v_cndmask_b32_e32 v5, v6, v5, vcc
	v_add_f32_e32 v5, 1.0, v5
	v_div_scale_f32 v6, s[0:1], v5, v5, 1.0
	v_rcp_f32_e32 v7, v6
	v_fma_f32 v8, -v6, v7, 1.0
	v_fmac_f32_e32 v7, v8, v7
	v_div_scale_f32 v8, vcc, 1.0, v5, 1.0
	v_mul_f32_e32 v9, v8, v7
	v_fma_f32 v10, -v6, v9, v8
	v_fmac_f32_e32 v9, v10, v7
	v_fma_f32 v6, -v6, v9, v8
	v_div_fmas_f32 v6, v6, v7, v9
	v_div_fixup_f32 v5, v6, v5, 1.0
.LBB15_8:
	s_waitcnt vmcnt(0)
	v_mov_b32_e32 v8, v5
.LBB15_9:
	s_lshr_b32 s14, s6, 8
	s_cmp_gt_i32 s9, 0
	s_mov_b32 s8, 0
	s_cbranch_scc1 .LBB15_11
; %bb.10:
	s_bitcmp1_b32 s14, 0
	s_waitcnt lgkmcnt(0)
	s_mov_b64 s[0:1], 0
	s_cselect_b64 s[6:7], -1, 0
	s_branch .LBB15_12
.LBB15_11:
	s_waitcnt lgkmcnt(0)
	s_mov_b64 s[0:1], -1
                                        ; implicit-def: $sgpr8
                                        ; implicit-def: $sgpr6_sgpr7
.LBB15_12:
	s_andn2_b64 vcc, exec, s[0:1]
	v_mov_b32_e32 v7, s8
	v_mbcnt_lo_u32_b32 v6, -1, 0
	v_mov_b32_e32 v5, s8
	s_cbranch_vccnz .LBB15_37
; %bb.13:
	v_mov_b32_e32 v5, s13
	v_add_co_u32_e32 v0, vcc, s12, v0
	v_addc_co_u32_e32 v1, vcc, v5, v1, vcc
	v_mov_b32_e32 v5, 0xff7fffff
	s_waitcnt vmcnt(0)
	v_cmp_o_f32_e32 vcc, v8, v8
	v_cndmask_b32_e32 v8, v5, v8, vcc
	v_mbcnt_hi_u32_b32 v5, -1, v6
	v_and_b32_e32 v7, 0x60, v5
	v_add_u32_e32 v7, 32, v7
	v_xor_b32_e32 v9, 16, v5
	v_cmp_lt_i32_e32 vcc, v9, v7
	v_xor_b32_e32 v10, 8, v5
	v_cndmask_b32_e32 v9, v5, v9, vcc
	v_cmp_lt_i32_e32 vcc, v10, v7
	v_xor_b32_e32 v11, 4, v5
	v_cndmask_b32_e32 v10, v5, v10, vcc
	;; [unrolled: 3-line block ×4, first 2 shown]
	v_cmp_lt_i32_e32 vcc, v13, v7
	s_bitcmp1_b32 s14, 0
	v_cndmask_b32_e32 v5, v5, v13, vcc
	s_mov_b32 s8, 0
	s_cselect_b64 s[6:7], -1, 0
	v_lshlrev_b32_e32 v9, 2, v9
	v_lshlrev_b32_e32 v10, 2, v10
	;; [unrolled: 1-line block ×5, first 2 shown]
	v_mov_b32_e32 v7, 0
	v_mov_b32_e32 v14, 0xff800000
	;; [unrolled: 1-line block ×3, first 2 shown]
	s_branch .LBB15_15
.LBB15_14:                              ;   in Loop: Header=BB15_15 Depth=1
	s_or_b64 exec, exec, s[0:1]
	s_and_b32 s0, s8, 31
	v_cndmask_b32_e32 v8, v8, v14, vcc
	v_cmp_eq_u32_e32 vcc, s0, v4
	v_cndmask_b32_e32 v5, v5, v15, vcc
	s_add_i32 s8, s8, 1
	v_add_co_u32_e32 v0, vcc, 4, v0
	s_cmp_eq_u32 s9, s8
	v_addc_co_u32_e32 v1, vcc, 0, v1, vcc
	s_cbranch_scc1 .LBB15_37
.LBB15_15:                              ; =>This Inner Loop Header: Depth=1
	s_waitcnt lgkmcnt(0)
	ds_bpermute_b32 v18, v9, v8
	ds_bpermute_b32 v19, v9, v4
                                        ; implicit-def: $vgpr17
	s_waitcnt lgkmcnt(1)
	v_cmp_lt_f32_e64 s[12:13], v8, v18
	v_cmp_nlt_f32_e32 vcc, v8, v18
	s_and_saveexec_b64 s[14:15], vcc
	s_cbranch_execz .LBB15_17
; %bb.16:                               ;   in Loop: Header=BB15_15 Depth=1
	v_cmp_eq_f32_e32 vcc, v8, v18
	s_waitcnt lgkmcnt(0)
	v_cmp_lt_i32_e64 s[0:1], v19, v4
	s_and_b64 s[0:1], vcc, s[0:1]
	s_andn2_b64 s[12:13], s[12:13], exec
	s_and_b64 s[0:1], s[0:1], exec
	s_or_b64 s[12:13], s[12:13], s[0:1]
	v_mov_b32_e32 v17, v8
.LBB15_17:                              ;   in Loop: Header=BB15_15 Depth=1
	s_or_b64 exec, exec, s[14:15]
	v_mov_b32_e32 v15, v8
	v_mov_b32_e32 v16, v4
	s_and_saveexec_b64 s[0:1], s[12:13]
	s_cbranch_execz .LBB15_19
; %bb.18:                               ;   in Loop: Header=BB15_15 Depth=1
	v_mov_b32_e32 v17, v18
	v_mov_b32_e32 v15, v18
	s_waitcnt lgkmcnt(0)
	v_mov_b32_e32 v16, v19
.LBB15_19:                              ;   in Loop: Header=BB15_15 Depth=1
	s_or_b64 exec, exec, s[0:1]
	ds_bpermute_b32 v18, v10, v17
	s_waitcnt lgkmcnt(1)
	ds_bpermute_b32 v19, v10, v16
	s_waitcnt lgkmcnt(1)
	v_cmp_lt_f32_e64 s[12:13], v15, v18
	v_cmp_nlt_f32_e32 vcc, v15, v18
	s_and_saveexec_b64 s[14:15], vcc
	s_cbranch_execz .LBB15_21
; %bb.20:                               ;   in Loop: Header=BB15_15 Depth=1
	v_cmp_eq_f32_e32 vcc, v15, v18
	s_waitcnt lgkmcnt(0)
	v_cmp_lt_i32_e64 s[0:1], v19, v16
	s_and_b64 s[0:1], vcc, s[0:1]
	s_andn2_b64 s[12:13], s[12:13], exec
	s_and_b64 s[0:1], s[0:1], exec
	s_or_b64 s[12:13], s[12:13], s[0:1]
.LBB15_21:                              ;   in Loop: Header=BB15_15 Depth=1
	s_or_b64 exec, exec, s[14:15]
	s_and_saveexec_b64 s[0:1], s[12:13]
	s_cbranch_execz .LBB15_23
; %bb.22:                               ;   in Loop: Header=BB15_15 Depth=1
	v_mov_b32_e32 v17, v18
	v_mov_b32_e32 v15, v18
	s_waitcnt lgkmcnt(0)
	v_mov_b32_e32 v16, v19
.LBB15_23:                              ;   in Loop: Header=BB15_15 Depth=1
	s_or_b64 exec, exec, s[0:1]
	ds_bpermute_b32 v18, v11, v17
	s_waitcnt lgkmcnt(1)
	ds_bpermute_b32 v19, v11, v16
	s_waitcnt lgkmcnt(1)
	v_cmp_lt_f32_e64 s[12:13], v15, v18
	v_cmp_nlt_f32_e32 vcc, v15, v18
	s_and_saveexec_b64 s[14:15], vcc
	s_cbranch_execz .LBB15_25
; %bb.24:                               ;   in Loop: Header=BB15_15 Depth=1
	v_cmp_eq_f32_e32 vcc, v15, v18
	s_waitcnt lgkmcnt(0)
	v_cmp_lt_i32_e64 s[0:1], v19, v16
	s_and_b64 s[0:1], vcc, s[0:1]
	s_andn2_b64 s[12:13], s[12:13], exec
	s_and_b64 s[0:1], s[0:1], exec
	s_or_b64 s[12:13], s[12:13], s[0:1]
.LBB15_25:                              ;   in Loop: Header=BB15_15 Depth=1
	s_or_b64 exec, exec, s[14:15]
	;; [unrolled: 27-line block ×3, first 2 shown]
	s_and_saveexec_b64 s[0:1], s[12:13]
	s_cbranch_execz .LBB15_31
; %bb.30:                               ;   in Loop: Header=BB15_15 Depth=1
	v_mov_b32_e32 v17, v18
	v_mov_b32_e32 v15, v18
	s_waitcnt lgkmcnt(0)
	v_mov_b32_e32 v16, v19
.LBB15_31:                              ;   in Loop: Header=BB15_15 Depth=1
	s_or_b64 exec, exec, s[0:1]
	ds_bpermute_b32 v17, v13, v17
	ds_bpermute_b32 v18, v13, v16
	s_waitcnt lgkmcnt(1)
	v_cmp_lt_f32_e64 s[12:13], v15, v17
	v_cmp_nlt_f32_e32 vcc, v15, v17
	s_and_saveexec_b64 s[14:15], vcc
	s_cbranch_execz .LBB15_33
; %bb.32:                               ;   in Loop: Header=BB15_15 Depth=1
	v_cmp_eq_f32_e32 vcc, v15, v17
	s_waitcnt lgkmcnt(0)
	v_cmp_lt_i32_e64 s[0:1], v18, v16
	s_and_b64 s[0:1], vcc, s[0:1]
	s_andn2_b64 s[12:13], s[12:13], exec
	s_and_b64 s[0:1], s[0:1], exec
	s_or_b64 s[12:13], s[12:13], s[0:1]
.LBB15_33:                              ;   in Loop: Header=BB15_15 Depth=1
	s_or_b64 exec, exec, s[14:15]
	s_and_saveexec_b64 s[0:1], s[12:13]
	s_cbranch_execz .LBB15_35
; %bb.34:                               ;   in Loop: Header=BB15_15 Depth=1
	v_mov_b32_e32 v15, v17
	s_waitcnt lgkmcnt(0)
	v_mov_b32_e32 v16, v18
.LBB15_35:                              ;   in Loop: Header=BB15_15 Depth=1
	s_or_b64 exec, exec, s[0:1]
	v_and_b32_e32 v17, 31, v16
	v_cmp_eq_u32_e32 vcc, v17, v4
	s_and_saveexec_b64 s[0:1], vcc
	s_cbranch_execz .LBB15_14
; %bb.36:                               ;   in Loop: Header=BB15_15 Depth=1
	v_add_f32_e32 v17, v7, v15
	v_cndmask_b32_e64 v7, v7, v17, s[6:7]
	global_store_dword v[0:1], v16, off
	s_branch .LBB15_14
.LBB15_37:
	s_and_b64 vcc, exec, s[6:7]
	s_cbranch_vccnz .LBB15_42
; %bb.38:
	s_andn2_b64 vcc, exec, s[4:5]
	v_cmp_gt_i32_e64 s[0:1], s9, v4
	s_cbranch_vccz .LBB15_43
.LBB15_39:
	v_cmp_gt_i32_e32 vcc, s9, v4
	s_and_b64 exec, exec, vcc
	s_cbranch_execz .LBB15_41
.LBB15_40:
	v_mul_lo_u32 v0, v2, s9
	v_ashrrev_i32_e32 v1, 31, v0
	v_lshlrev_b64 v[0:1], 2, v[0:1]
	v_mov_b32_e32 v2, s3
	v_add_co_u32_e32 v0, vcc, s2, v0
	v_addc_co_u32_e32 v1, vcc, v2, v1, vcc
	v_add_co_u32_e32 v0, vcc, v0, v3
	v_addc_co_u32_e32 v1, vcc, 0, v1, vcc
	v_mul_f32_e32 v2, s11, v5
	global_store_dword v[0:1], v2, off
.LBB15_41:
	s_endpgm
.LBB15_42:
	v_mbcnt_hi_u32_b32 v0, -1, v6
	v_and_b32_e32 v1, 0x60, v0
	v_add_u32_e32 v1, 32, v1
	s_waitcnt vmcnt(0)
	v_xor_b32_e32 v8, 16, v0
	v_cmp_lt_i32_e32 vcc, v8, v1
	v_cndmask_b32_e32 v8, v0, v8, vcc
	v_lshlrev_b32_e32 v8, 2, v8
	ds_bpermute_b32 v8, v8, v7
	v_xor_b32_e32 v9, 8, v0
	v_cmp_lt_i32_e32 vcc, v9, v1
	s_waitcnt lgkmcnt(0)
	v_add_f32_e32 v7, v7, v8
	v_cndmask_b32_e32 v8, v0, v9, vcc
	v_lshlrev_b32_e32 v8, 2, v8
	ds_bpermute_b32 v8, v8, v7
	v_xor_b32_e32 v9, 4, v0
	v_cmp_lt_i32_e32 vcc, v9, v1
	s_waitcnt lgkmcnt(0)
	v_add_f32_e32 v7, v7, v8
	;; [unrolled: 7-line block ×3, first 2 shown]
	v_cndmask_b32_e32 v8, v0, v9, vcc
	v_lshlrev_b32_e32 v8, 2, v8
	ds_bpermute_b32 v8, v8, v7
	v_xor_b32_e32 v9, 1, v0
	v_cmp_lt_i32_e32 vcc, v9, v1
	v_cndmask_b32_e32 v0, v0, v9, vcc
	v_lshlrev_b32_e32 v0, 2, v0
	s_waitcnt lgkmcnt(0)
	v_add_f32_e32 v7, v7, v8
	ds_bpermute_b32 v0, v0, v7
	v_max_f32_e64 v1, s10, s10
	s_waitcnt lgkmcnt(0)
	v_add_f32_e32 v0, v7, v0
	v_max_f32_e32 v0, v0, v1
	v_div_scale_f32 v1, s[0:1], v0, v0, 1.0
	v_rcp_f32_e32 v7, v1
	v_div_scale_f32 v8, vcc, 1.0, v0, 1.0
	v_fma_f32 v9, -v1, v7, 1.0
	v_fmac_f32_e32 v7, v9, v7
	v_mul_f32_e32 v9, v8, v7
	v_fma_f32 v10, -v1, v9, v8
	v_fmac_f32_e32 v9, v10, v7
	v_fma_f32 v1, -v1, v9, v8
	v_div_fmas_f32 v1, v1, v7, v9
	v_div_fixup_f32 v0, v1, v0, 1.0
	v_mul_f32_e32 v5, v5, v0
	s_andn2_b64 vcc, exec, s[4:5]
	v_cmp_gt_i32_e64 s[0:1], s9, v4
	s_cbranch_vccnz .LBB15_39
.LBB15_43:
	v_max_f32_e32 v0, v5, v5
	v_max_f32_e32 v0, 0xff800000, v0
	v_mov_b32_e32 v1, 0xff800000
	v_cndmask_b32_e64 v0, v1, v0, s[0:1]
	v_mbcnt_hi_u32_b32 v1, -1, v6
	v_and_b32_e32 v6, 0x60, v1
	v_add_u32_e32 v6, 32, v6
	v_xor_b32_e32 v7, 16, v1
	v_cmp_lt_i32_e32 vcc, v7, v6
	v_cndmask_b32_e32 v7, v1, v7, vcc
	v_lshlrev_b32_e32 v7, 2, v7
	s_waitcnt vmcnt(0)
	ds_bpermute_b32 v8, v7, v0
	s_mov_b32 s4, 0x3fb8aa3b
	s_waitcnt lgkmcnt(0)
	v_max_f32_e32 v8, v8, v8
	v_max_f32_e32 v0, v0, v8
	v_xor_b32_e32 v8, 8, v1
	v_cmp_lt_i32_e32 vcc, v8, v6
	v_cndmask_b32_e32 v8, v1, v8, vcc
	v_lshlrev_b32_e32 v8, 2, v8
	ds_bpermute_b32 v9, v8, v0
	s_waitcnt lgkmcnt(0)
	v_max_f32_e32 v9, v9, v9
	v_max_f32_e32 v0, v0, v9
	v_xor_b32_e32 v9, 4, v1
	v_cmp_lt_i32_e32 vcc, v9, v6
	v_cndmask_b32_e32 v9, v1, v9, vcc
	v_lshlrev_b32_e32 v9, 2, v9
	ds_bpermute_b32 v10, v9, v0
	;; [unrolled: 8-line block ×4, first 2 shown]
	s_waitcnt lgkmcnt(0)
	v_max_f32_e32 v1, v1, v1
	v_max_f32_e32 v0, v0, v1
	v_sub_f32_e32 v0, v5, v0
	v_mul_f32_e32 v1, 0x3fb8aa3b, v0
	v_fma_f32 v5, v0, s4, -v1
	v_rndne_f32_e32 v11, v1
	v_fmac_f32_e32 v5, 0x32a5705f, v0
	v_sub_f32_e32 v1, v1, v11
	v_add_f32_e32 v1, v1, v5
	v_exp_f32_e32 v1, v1
	v_cvt_i32_f32_e32 v5, v11
	s_mov_b32 s4, 0xc2ce8ed0
	v_cmp_ngt_f32_e32 vcc, s4, v0
	s_mov_b32 s4, 0x42b17218
	v_ldexp_f32 v1, v1, v5
	v_cndmask_b32_e32 v1, 0, v1, vcc
	v_mov_b32_e32 v5, 0x7f800000
	v_cmp_nlt_f32_e32 vcc, s4, v0
	v_cndmask_b32_e32 v0, v5, v1, vcc
	v_cndmask_b32_e64 v1, 0, v0, s[0:1]
	ds_bpermute_b32 v5, v7, v1
	s_waitcnt lgkmcnt(0)
	v_add_f32_e32 v1, v1, v5
	ds_bpermute_b32 v5, v8, v1
	s_waitcnt lgkmcnt(0)
	v_add_f32_e32 v1, v1, v5
	;; [unrolled: 3-line block ×4, first 2 shown]
	ds_bpermute_b32 v6, v6, v1
	v_mov_b32_e32 v5, 0
	s_and_saveexec_b64 s[4:5], s[0:1]
	s_cbranch_execz .LBB15_45
; %bb.44:
	s_waitcnt lgkmcnt(0)
	v_add_f32_e32 v1, v1, v6
	v_div_scale_f32 v5, s[0:1], v1, v1, 1.0
	v_rcp_f32_e32 v6, v5
	v_div_scale_f32 v7, vcc, 1.0, v1, 1.0
	v_fma_f32 v8, -v5, v6, 1.0
	v_fmac_f32_e32 v6, v8, v6
	v_mul_f32_e32 v8, v7, v6
	v_fma_f32 v9, -v5, v8, v7
	v_fmac_f32_e32 v8, v9, v6
	v_fma_f32 v5, -v5, v8, v7
	v_div_fmas_f32 v5, v5, v6, v8
	v_div_fixup_f32 v1, v5, v1, 1.0
	v_mul_f32_e32 v5, v0, v1
.LBB15_45:
	s_or_b64 exec, exec, s[4:5]
	v_cmp_gt_i32_e32 vcc, s9, v4
	s_and_b64 exec, exec, vcc
	s_cbranch_execnz .LBB15_40
	s_branch .LBB15_41
	.section	.rodata,"a",@progbits
	.p2align	6, 0x0
	.amdhsa_kernel _Z13topk_moe_cudaILi16ELb0EEvPKfPfPiS2_iiff15topk_moe_config
		.amdhsa_group_segment_fixed_size 0
		.amdhsa_private_segment_fixed_size 0
		.amdhsa_kernarg_size 312
		.amdhsa_user_sgpr_count 6
		.amdhsa_user_sgpr_private_segment_buffer 1
		.amdhsa_user_sgpr_dispatch_ptr 0
		.amdhsa_user_sgpr_queue_ptr 0
		.amdhsa_user_sgpr_kernarg_segment_ptr 1
		.amdhsa_user_sgpr_dispatch_id 0
		.amdhsa_user_sgpr_flat_scratch_init 0
		.amdhsa_user_sgpr_kernarg_preload_length 0
		.amdhsa_user_sgpr_kernarg_preload_offset 0
		.amdhsa_user_sgpr_private_segment_size 0
		.amdhsa_uses_dynamic_stack 0
		.amdhsa_system_sgpr_private_segment_wavefront_offset 0
		.amdhsa_system_sgpr_workgroup_id_x 1
		.amdhsa_system_sgpr_workgroup_id_y 0
		.amdhsa_system_sgpr_workgroup_id_z 0
		.amdhsa_system_sgpr_workgroup_info 0
		.amdhsa_system_vgpr_workitem_id 1
		.amdhsa_next_free_vgpr 20
		.amdhsa_next_free_sgpr 16
		.amdhsa_accum_offset 20
		.amdhsa_reserve_vcc 1
		.amdhsa_reserve_flat_scratch 0
		.amdhsa_float_round_mode_32 0
		.amdhsa_float_round_mode_16_64 0
		.amdhsa_float_denorm_mode_32 3
		.amdhsa_float_denorm_mode_16_64 3
		.amdhsa_dx10_clamp 1
		.amdhsa_ieee_mode 1
		.amdhsa_fp16_overflow 0
		.amdhsa_tg_split 0
		.amdhsa_exception_fp_ieee_invalid_op 0
		.amdhsa_exception_fp_denorm_src 0
		.amdhsa_exception_fp_ieee_div_zero 0
		.amdhsa_exception_fp_ieee_overflow 0
		.amdhsa_exception_fp_ieee_underflow 0
		.amdhsa_exception_fp_ieee_inexact 0
		.amdhsa_exception_int_div_zero 0
	.end_amdhsa_kernel
	.section	.text._Z13topk_moe_cudaILi16ELb0EEvPKfPfPiS2_iiff15topk_moe_config,"axG",@progbits,_Z13topk_moe_cudaILi16ELb0EEvPKfPfPiS2_iiff15topk_moe_config,comdat
.Lfunc_end15:
	.size	_Z13topk_moe_cudaILi16ELb0EEvPKfPfPiS2_iiff15topk_moe_config, .Lfunc_end15-_Z13topk_moe_cudaILi16ELb0EEvPKfPfPiS2_iiff15topk_moe_config
                                        ; -- End function
	.section	.AMDGPU.csdata,"",@progbits
; Kernel info:
; codeLenInByte = 2700
; NumSgprs: 20
; NumVgprs: 20
; NumAgprs: 0
; TotalNumVgprs: 20
; ScratchSize: 0
; MemoryBound: 0
; FloatMode: 240
; IeeeMode: 1
; LDSByteSize: 0 bytes/workgroup (compile time only)
; SGPRBlocks: 2
; VGPRBlocks: 2
; NumSGPRsForWavesPerEU: 20
; NumVGPRsForWavesPerEU: 20
; AccumOffset: 20
; Occupancy: 8
; WaveLimiterHint : 0
; COMPUTE_PGM_RSRC2:SCRATCH_EN: 0
; COMPUTE_PGM_RSRC2:USER_SGPR: 6
; COMPUTE_PGM_RSRC2:TRAP_HANDLER: 0
; COMPUTE_PGM_RSRC2:TGID_X_EN: 1
; COMPUTE_PGM_RSRC2:TGID_Y_EN: 0
; COMPUTE_PGM_RSRC2:TGID_Z_EN: 0
; COMPUTE_PGM_RSRC2:TIDIG_COMP_CNT: 1
; COMPUTE_PGM_RSRC3_GFX90A:ACCUM_OFFSET: 4
; COMPUTE_PGM_RSRC3_GFX90A:TG_SPLIT: 0
	.section	.text._Z13topk_moe_cudaILi32ELb0EEvPKfPfPiS2_iiff15topk_moe_config,"axG",@progbits,_Z13topk_moe_cudaILi32ELb0EEvPKfPfPiS2_iiff15topk_moe_config,comdat
	.protected	_Z13topk_moe_cudaILi32ELb0EEvPKfPfPiS2_iiff15topk_moe_config ; -- Begin function _Z13topk_moe_cudaILi32ELb0EEvPKfPfPiS2_iiff15topk_moe_config
	.globl	_Z13topk_moe_cudaILi32ELb0EEvPKfPfPiS2_iiff15topk_moe_config
	.p2align	8
	.type	_Z13topk_moe_cudaILi32ELb0EEvPKfPfPiS2_iiff15topk_moe_config,@function
_Z13topk_moe_cudaILi32ELb0EEvPKfPfPiS2_iiff15topk_moe_config: ; @_Z13topk_moe_cudaILi32ELb0EEvPKfPfPiS2_iiff15topk_moe_config
; %bb.0:
	s_load_dword s0, s[4:5], 0x44
	s_load_dwordx4 s[8:11], s[4:5], 0x20
	v_bfe_u32 v1, v0, 10, 10
	s_waitcnt lgkmcnt(0)
	s_lshr_b32 s0, s0, 16
	s_mul_i32 s6, s6, s0
	v_add_u32_e32 v4, s6, v1
	v_cmp_gt_i32_e32 vcc, s8, v4
	s_and_saveexec_b64 s[0:1], vcc
	s_cbranch_execz .LBB16_39
; %bb.1:
	s_load_dwordx4 s[0:3], s[4:5], 0x0
	s_load_dwordx2 s[12:13], s[4:5], 0x10
	v_lshlrev_b32_e32 v2, 5, v4
	v_ashrrev_i32_e32 v3, 31, v2
	v_lshlrev_b64 v[2:3], 2, v[2:3]
	s_waitcnt lgkmcnt(0)
	v_mov_b32_e32 v5, s1
	v_add_co_u32_e32 v7, vcc, s0, v2
	v_and_b32_e32 v6, 0x3ff, v0
	v_addc_co_u32_e32 v9, vcc, v5, v3, vcc
	v_lshlrev_b32_e32 v5, 2, v6
	v_add_co_u32_e32 v8, vcc, v7, v5
	v_mov_b32_e32 v1, 0
	v_addc_co_u32_e32 v9, vcc, 0, v9, vcc
	global_load_ushort v1, v1, s[4:5] offset:48
	s_load_dword s0, s[4:5], 0x30
	global_load_dword v10, v[8:9], off
	s_waitcnt lgkmcnt(0)
	s_bitcmp1_b32 s0, 16
	s_cselect_b64 s[4:5], -1, 0
	s_and_b64 vcc, exec, s[4:5]
	s_cbranch_vccnz .LBB16_7
; %bb.2:
	s_waitcnt vmcnt(1)
	v_and_b32_e32 v0, 1, v1
	v_cmp_eq_u32_e32 vcc, 0, v0
	s_cbranch_vccz .LBB16_4
; %bb.3:
	v_mbcnt_lo_u32_b32 v7, -1, 0
	v_mbcnt_hi_u32_b32 v7, -1, v7
	v_and_b32_e32 v8, 0x60, v7
	v_add_u32_e32 v8, 32, v8
	v_xor_b32_e32 v9, 16, v7
	v_cmp_lt_i32_e32 vcc, v9, v8
	s_waitcnt vmcnt(0)
	v_max_f32_e32 v0, v10, v10
	v_cndmask_b32_e32 v9, v7, v9, vcc
	v_max_f32_e32 v0, 0xff800000, v0
	v_lshlrev_b32_e32 v9, 2, v9
	ds_bpermute_b32 v11, v9, v0
	s_mov_b32 s0, 0x3fb8aa3b
	s_waitcnt lgkmcnt(0)
	v_max_f32_e32 v11, v11, v11
	v_max_f32_e32 v0, v0, v11
	v_xor_b32_e32 v11, 8, v7
	v_cmp_lt_i32_e32 vcc, v11, v8
	v_cndmask_b32_e32 v11, v7, v11, vcc
	v_lshlrev_b32_e32 v11, 2, v11
	ds_bpermute_b32 v12, v11, v0
	s_waitcnt lgkmcnt(0)
	v_max_f32_e32 v12, v12, v12
	v_max_f32_e32 v0, v0, v12
	v_xor_b32_e32 v12, 4, v7
	v_cmp_lt_i32_e32 vcc, v12, v8
	v_cndmask_b32_e32 v12, v7, v12, vcc
	v_lshlrev_b32_e32 v12, 2, v12
	ds_bpermute_b32 v13, v12, v0
	;; [unrolled: 8-line block ×4, first 2 shown]
	s_waitcnt lgkmcnt(0)
	v_max_f32_e32 v8, v8, v8
	v_max_f32_e32 v0, v0, v8
	v_sub_f32_e32 v0, v10, v0
	v_mul_f32_e32 v8, 0x3fb8aa3b, v0
	v_fma_f32 v14, v0, s0, -v8
	v_rndne_f32_e32 v15, v8
	v_fmac_f32_e32 v14, 0x32a5705f, v0
	v_sub_f32_e32 v8, v8, v15
	v_add_f32_e32 v8, v8, v14
	v_exp_f32_e32 v8, v8
	v_cvt_i32_f32_e32 v14, v15
	s_mov_b32 s0, 0xc2ce8ed0
	v_cmp_ngt_f32_e32 vcc, s0, v0
	s_mov_b32 s0, 0x42b17218
	v_ldexp_f32 v8, v8, v14
	v_cndmask_b32_e32 v8, 0, v8, vcc
	v_mov_b32_e32 v14, 0x7f800000
	v_cmp_nlt_f32_e32 vcc, s0, v0
	v_cndmask_b32_e32 v0, v14, v8, vcc
	ds_bpermute_b32 v8, v9, v0
	s_waitcnt lgkmcnt(0)
	v_add_f32_e32 v8, v0, v8
	ds_bpermute_b32 v9, v11, v8
	s_waitcnt lgkmcnt(0)
	v_add_f32_e32 v8, v8, v9
	;; [unrolled: 3-line block ×5, first 2 shown]
	v_div_scale_f32 v8, s[0:1], v7, v7, 1.0
	v_rcp_f32_e32 v9, v8
	v_div_scale_f32 v11, vcc, 1.0, v7, 1.0
	v_fma_f32 v12, -v8, v9, 1.0
	v_fmac_f32_e32 v9, v12, v9
	v_mul_f32_e32 v12, v11, v9
	v_fma_f32 v13, -v8, v12, v11
	v_fmac_f32_e32 v12, v13, v9
	v_fma_f32 v8, -v8, v12, v11
	v_div_fmas_f32 v8, v8, v9, v12
	v_div_fixup_f32 v7, v8, v7, 1.0
	v_mul_f32_e32 v0, v0, v7
	s_cbranch_execz .LBB16_5
	s_branch .LBB16_6
.LBB16_4:
                                        ; implicit-def: $vgpr0
.LBB16_5:
	s_waitcnt vmcnt(0)
	v_mul_f32_e32 v0, 0xbfb8aa3b, v10
	s_mov_b32 s0, 0xbfb8aa3b
	v_rndne_f32_e32 v7, v0
	v_sub_f32_e32 v8, v0, v7
	v_fma_f32 v0, v10, s0, -v0
	v_fmac_f32_e32 v0, 0xb2a5705f, v10
	v_add_f32_e32 v0, v8, v0
	v_exp_f32_e32 v0, v0
	v_cvt_i32_f32_e32 v7, v7
	s_mov_b32 s0, 0x42ce8ed0
	v_cmp_nlt_f32_e32 vcc, s0, v10
	s_mov_b32 s0, 0xc2b17218
	v_ldexp_f32 v0, v0, v7
	v_cndmask_b32_e32 v0, 0, v0, vcc
	v_mov_b32_e32 v7, 0x7f800000
	v_cmp_ngt_f32_e32 vcc, s0, v10
	v_cndmask_b32_e32 v0, v7, v0, vcc
	v_add_f32_e32 v0, 1.0, v0
	v_div_scale_f32 v7, s[0:1], v0, v0, 1.0
	v_rcp_f32_e32 v8, v7
	v_fma_f32 v9, -v7, v8, 1.0
	v_fmac_f32_e32 v8, v9, v8
	v_div_scale_f32 v9, vcc, 1.0, v0, 1.0
	v_mul_f32_e32 v10, v9, v8
	v_fma_f32 v11, -v7, v10, v9
	v_fmac_f32_e32 v10, v11, v8
	v_fma_f32 v7, -v7, v10, v9
	v_div_fmas_f32 v7, v7, v8, v10
	v_div_fixup_f32 v0, v7, v0, 1.0
.LBB16_6:
	s_waitcnt vmcnt(0)
	v_mov_b32_e32 v10, v0
.LBB16_7:
	s_waitcnt vmcnt(1)
	v_lshrrev_b16_e32 v0, 8, v1
	s_cmp_gt_i32 s9, 0
	v_readfirstlane_b32 s14, v0
	s_cbranch_scc1 .LBB16_9
; %bb.8:
	s_bitcmp1_b32 s14, 0
	s_mov_b64 s[0:1], 0
	s_mov_b32 s8, 0
	s_cselect_b64 s[6:7], -1, 0
	s_branch .LBB16_10
.LBB16_9:
	s_mov_b64 s[0:1], -1
                                        ; implicit-def: $sgpr8
                                        ; implicit-def: $sgpr6_sgpr7
.LBB16_10:
	s_andn2_b64 vcc, exec, s[0:1]
	v_mov_b32_e32 v9, s8
	v_mbcnt_lo_u32_b32 v8, -1, 0
	v_mov_b32_e32 v7, s8
	s_cbranch_vccnz .LBB16_35
; %bb.11:
	v_mov_b32_e32 v1, s13
	v_add_co_u32_e32 v0, vcc, s12, v2
	v_mbcnt_hi_u32_b32 v7, -1, v8
	v_addc_co_u32_e32 v1, vcc, v1, v3, vcc
	v_and_b32_e32 v3, 0x60, v7
	v_mov_b32_e32 v2, 0xff7fffff
	s_waitcnt vmcnt(0)
	v_cmp_o_f32_e32 vcc, v10, v10
	v_add_u32_e32 v9, 32, v3
	v_xor_b32_e32 v3, 16, v7
	v_cndmask_b32_e32 v2, v2, v10, vcc
	v_cmp_lt_i32_e32 vcc, v3, v9
	v_xor_b32_e32 v10, 8, v7
	v_cndmask_b32_e32 v3, v7, v3, vcc
	v_cmp_lt_i32_e32 vcc, v10, v9
	;; [unrolled: 3-line block ×5, first 2 shown]
	s_bitcmp1_b32 s14, 0
	v_cndmask_b32_e32 v7, v7, v13, vcc
	s_mov_b32 s8, 0
	s_cselect_b64 s[6:7], -1, 0
	v_lshlrev_b32_e32 v3, 2, v3
	v_lshlrev_b32_e32 v10, 2, v10
	v_lshlrev_b32_e32 v11, 2, v11
	v_lshlrev_b32_e32 v12, 2, v12
	v_lshlrev_b32_e32 v13, 2, v7
	v_mov_b32_e32 v9, 0
	v_mov_b32_e32 v14, 0xff800000
	;; [unrolled: 1-line block ×3, first 2 shown]
	s_branch .LBB16_13
.LBB16_12:                              ;   in Loop: Header=BB16_13 Depth=1
	s_or_b64 exec, exec, s[0:1]
	s_and_b32 s0, s8, 31
	v_cndmask_b32_e32 v2, v2, v14, vcc
	v_cmp_eq_u32_e32 vcc, s0, v6
	v_cndmask_b32_e32 v7, v7, v15, vcc
	s_add_i32 s8, s8, 1
	v_add_co_u32_e32 v0, vcc, 4, v0
	s_cmp_eq_u32 s9, s8
	v_addc_co_u32_e32 v1, vcc, 0, v1, vcc
	s_cbranch_scc1 .LBB16_35
.LBB16_13:                              ; =>This Inner Loop Header: Depth=1
	s_waitcnt lgkmcnt(0)
	ds_bpermute_b32 v18, v3, v2
	ds_bpermute_b32 v19, v3, v6
                                        ; implicit-def: $vgpr17
	s_waitcnt lgkmcnt(1)
	v_cmp_lt_f32_e64 s[12:13], v2, v18
	v_cmp_nlt_f32_e32 vcc, v2, v18
	s_and_saveexec_b64 s[14:15], vcc
	s_cbranch_execz .LBB16_15
; %bb.14:                               ;   in Loop: Header=BB16_13 Depth=1
	v_cmp_eq_f32_e32 vcc, v2, v18
	s_waitcnt lgkmcnt(0)
	v_cmp_lt_i32_e64 s[0:1], v19, v6
	s_and_b64 s[0:1], vcc, s[0:1]
	s_andn2_b64 s[12:13], s[12:13], exec
	s_and_b64 s[0:1], s[0:1], exec
	s_or_b64 s[12:13], s[12:13], s[0:1]
	v_mov_b32_e32 v17, v2
.LBB16_15:                              ;   in Loop: Header=BB16_13 Depth=1
	s_or_b64 exec, exec, s[14:15]
	v_mov_b32_e32 v15, v2
	v_mov_b32_e32 v16, v6
	s_and_saveexec_b64 s[0:1], s[12:13]
	s_cbranch_execz .LBB16_17
; %bb.16:                               ;   in Loop: Header=BB16_13 Depth=1
	v_mov_b32_e32 v17, v18
	v_mov_b32_e32 v15, v18
	s_waitcnt lgkmcnt(0)
	v_mov_b32_e32 v16, v19
.LBB16_17:                              ;   in Loop: Header=BB16_13 Depth=1
	s_or_b64 exec, exec, s[0:1]
	ds_bpermute_b32 v18, v10, v17
	s_waitcnt lgkmcnt(1)
	ds_bpermute_b32 v19, v10, v16
	s_waitcnt lgkmcnt(1)
	v_cmp_lt_f32_e64 s[12:13], v15, v18
	v_cmp_nlt_f32_e32 vcc, v15, v18
	s_and_saveexec_b64 s[14:15], vcc
	s_cbranch_execz .LBB16_19
; %bb.18:                               ;   in Loop: Header=BB16_13 Depth=1
	v_cmp_eq_f32_e32 vcc, v15, v18
	s_waitcnt lgkmcnt(0)
	v_cmp_lt_i32_e64 s[0:1], v19, v16
	s_and_b64 s[0:1], vcc, s[0:1]
	s_andn2_b64 s[12:13], s[12:13], exec
	s_and_b64 s[0:1], s[0:1], exec
	s_or_b64 s[12:13], s[12:13], s[0:1]
.LBB16_19:                              ;   in Loop: Header=BB16_13 Depth=1
	s_or_b64 exec, exec, s[14:15]
	s_and_saveexec_b64 s[0:1], s[12:13]
	s_cbranch_execz .LBB16_21
; %bb.20:                               ;   in Loop: Header=BB16_13 Depth=1
	v_mov_b32_e32 v17, v18
	v_mov_b32_e32 v15, v18
	s_waitcnt lgkmcnt(0)
	v_mov_b32_e32 v16, v19
.LBB16_21:                              ;   in Loop: Header=BB16_13 Depth=1
	s_or_b64 exec, exec, s[0:1]
	ds_bpermute_b32 v18, v11, v17
	s_waitcnt lgkmcnt(1)
	ds_bpermute_b32 v19, v11, v16
	s_waitcnt lgkmcnt(1)
	v_cmp_lt_f32_e64 s[12:13], v15, v18
	v_cmp_nlt_f32_e32 vcc, v15, v18
	s_and_saveexec_b64 s[14:15], vcc
	s_cbranch_execz .LBB16_23
; %bb.22:                               ;   in Loop: Header=BB16_13 Depth=1
	v_cmp_eq_f32_e32 vcc, v15, v18
	s_waitcnt lgkmcnt(0)
	v_cmp_lt_i32_e64 s[0:1], v19, v16
	s_and_b64 s[0:1], vcc, s[0:1]
	s_andn2_b64 s[12:13], s[12:13], exec
	s_and_b64 s[0:1], s[0:1], exec
	s_or_b64 s[12:13], s[12:13], s[0:1]
.LBB16_23:                              ;   in Loop: Header=BB16_13 Depth=1
	s_or_b64 exec, exec, s[14:15]
	;; [unrolled: 27-line block ×3, first 2 shown]
	s_and_saveexec_b64 s[0:1], s[12:13]
	s_cbranch_execz .LBB16_29
; %bb.28:                               ;   in Loop: Header=BB16_13 Depth=1
	v_mov_b32_e32 v17, v18
	v_mov_b32_e32 v15, v18
	s_waitcnt lgkmcnt(0)
	v_mov_b32_e32 v16, v19
.LBB16_29:                              ;   in Loop: Header=BB16_13 Depth=1
	s_or_b64 exec, exec, s[0:1]
	ds_bpermute_b32 v17, v13, v17
	ds_bpermute_b32 v18, v13, v16
	s_waitcnt lgkmcnt(1)
	v_cmp_lt_f32_e64 s[12:13], v15, v17
	v_cmp_nlt_f32_e32 vcc, v15, v17
	s_and_saveexec_b64 s[14:15], vcc
	s_cbranch_execz .LBB16_31
; %bb.30:                               ;   in Loop: Header=BB16_13 Depth=1
	v_cmp_eq_f32_e32 vcc, v15, v17
	s_waitcnt lgkmcnt(0)
	v_cmp_lt_i32_e64 s[0:1], v18, v16
	s_and_b64 s[0:1], vcc, s[0:1]
	s_andn2_b64 s[12:13], s[12:13], exec
	s_and_b64 s[0:1], s[0:1], exec
	s_or_b64 s[12:13], s[12:13], s[0:1]
.LBB16_31:                              ;   in Loop: Header=BB16_13 Depth=1
	s_or_b64 exec, exec, s[14:15]
	s_and_saveexec_b64 s[0:1], s[12:13]
	s_cbranch_execz .LBB16_33
; %bb.32:                               ;   in Loop: Header=BB16_13 Depth=1
	v_mov_b32_e32 v15, v17
	s_waitcnt lgkmcnt(0)
	v_mov_b32_e32 v16, v18
.LBB16_33:                              ;   in Loop: Header=BB16_13 Depth=1
	s_or_b64 exec, exec, s[0:1]
	v_and_b32_e32 v17, 31, v16
	v_cmp_eq_u32_e32 vcc, v17, v6
	s_and_saveexec_b64 s[0:1], vcc
	s_cbranch_execz .LBB16_12
; %bb.34:                               ;   in Loop: Header=BB16_13 Depth=1
	v_add_f32_e32 v17, v9, v15
	v_cndmask_b32_e64 v9, v9, v17, s[6:7]
	global_store_dword v[0:1], v16, off
	s_branch .LBB16_12
.LBB16_35:
	s_and_b64 vcc, exec, s[6:7]
	s_cbranch_vccnz .LBB16_40
; %bb.36:
	s_andn2_b64 vcc, exec, s[4:5]
	v_cmp_gt_i32_e64 s[0:1], s9, v6
	s_cbranch_vccz .LBB16_41
.LBB16_37:
	v_cmp_gt_i32_e32 vcc, s9, v6
	s_and_b64 exec, exec, vcc
	s_cbranch_execz .LBB16_39
.LBB16_38:
	v_mul_lo_u32 v0, v4, s9
	v_ashrrev_i32_e32 v1, 31, v0
	v_lshlrev_b64 v[0:1], 2, v[0:1]
	s_waitcnt lgkmcnt(0)
	v_mov_b32_e32 v2, s3
	v_add_co_u32_e32 v0, vcc, s2, v0
	v_addc_co_u32_e32 v1, vcc, v2, v1, vcc
	v_add_co_u32_e32 v0, vcc, v0, v5
	v_addc_co_u32_e32 v1, vcc, 0, v1, vcc
	v_mul_f32_e32 v2, s11, v7
	global_store_dword v[0:1], v2, off
.LBB16_39:
	s_endpgm
.LBB16_40:
	v_mbcnt_hi_u32_b32 v0, -1, v8
	v_and_b32_e32 v1, 0x60, v0
	v_add_u32_e32 v1, 32, v1
	v_xor_b32_e32 v2, 16, v0
	v_cmp_lt_i32_e32 vcc, v2, v1
	v_cndmask_b32_e32 v2, v0, v2, vcc
	v_lshlrev_b32_e32 v2, 2, v2
	ds_bpermute_b32 v2, v2, v9
	v_xor_b32_e32 v3, 8, v0
	v_cmp_lt_i32_e32 vcc, v3, v1
	v_cndmask_b32_e32 v3, v0, v3, vcc
	v_lshlrev_b32_e32 v3, 2, v3
	s_waitcnt lgkmcnt(0)
	v_add_f32_e32 v2, v9, v2
	ds_bpermute_b32 v3, v3, v2
	v_xor_b32_e32 v9, 4, v0
	v_cmp_lt_i32_e32 vcc, v9, v1
	s_waitcnt lgkmcnt(0)
	v_add_f32_e32 v2, v2, v3
	v_cndmask_b32_e32 v3, v0, v9, vcc
	v_lshlrev_b32_e32 v3, 2, v3
	ds_bpermute_b32 v3, v3, v2
	v_xor_b32_e32 v9, 2, v0
	v_cmp_lt_i32_e32 vcc, v9, v1
	s_waitcnt lgkmcnt(0)
	v_add_f32_e32 v2, v2, v3
	v_cndmask_b32_e32 v3, v0, v9, vcc
	v_lshlrev_b32_e32 v3, 2, v3
	ds_bpermute_b32 v3, v3, v2
	v_xor_b32_e32 v9, 1, v0
	v_cmp_lt_i32_e32 vcc, v9, v1
	v_cndmask_b32_e32 v0, v0, v9, vcc
	v_lshlrev_b32_e32 v0, 2, v0
	s_waitcnt lgkmcnt(0)
	v_add_f32_e32 v2, v2, v3
	ds_bpermute_b32 v0, v0, v2
	v_max_f32_e64 v1, s10, s10
	s_waitcnt lgkmcnt(0)
	v_add_f32_e32 v0, v2, v0
	v_max_f32_e32 v0, v0, v1
	v_div_scale_f32 v1, s[0:1], v0, v0, 1.0
	v_rcp_f32_e32 v2, v1
	v_div_scale_f32 v3, vcc, 1.0, v0, 1.0
	v_fma_f32 v9, -v1, v2, 1.0
	v_fmac_f32_e32 v2, v9, v2
	v_mul_f32_e32 v9, v3, v2
	s_waitcnt vmcnt(0)
	v_fma_f32 v10, -v1, v9, v3
	v_fmac_f32_e32 v9, v10, v2
	v_fma_f32 v1, -v1, v9, v3
	v_div_fmas_f32 v1, v1, v2, v9
	v_div_fixup_f32 v0, v1, v0, 1.0
	v_mul_f32_e32 v7, v7, v0
	s_andn2_b64 vcc, exec, s[4:5]
	v_cmp_gt_i32_e64 s[0:1], s9, v6
	s_cbranch_vccnz .LBB16_37
.LBB16_41:
	v_max_f32_e32 v0, v7, v7
	v_max_f32_e32 v0, 0xff800000, v0
	v_mov_b32_e32 v1, 0xff800000
	v_cndmask_b32_e64 v0, v1, v0, s[0:1]
	v_mbcnt_hi_u32_b32 v1, -1, v8
	v_and_b32_e32 v2, 0x60, v1
	v_add_u32_e32 v2, 32, v2
	v_xor_b32_e32 v3, 16, v1
	v_cmp_lt_i32_e32 vcc, v3, v2
	v_cndmask_b32_e32 v3, v1, v3, vcc
	v_lshlrev_b32_e32 v3, 2, v3
	ds_bpermute_b32 v8, v3, v0
	s_mov_b32 s4, 0x3fb8aa3b
	s_waitcnt lgkmcnt(0)
	v_max_f32_e32 v8, v8, v8
	v_max_f32_e32 v0, v0, v8
	v_xor_b32_e32 v8, 8, v1
	v_cmp_lt_i32_e32 vcc, v8, v2
	v_cndmask_b32_e32 v8, v1, v8, vcc
	v_lshlrev_b32_e32 v8, 2, v8
	ds_bpermute_b32 v9, v8, v0
	s_waitcnt lgkmcnt(0)
	v_max_f32_e32 v9, v9, v9
	v_max_f32_e32 v0, v0, v9
	v_xor_b32_e32 v9, 4, v1
	v_cmp_lt_i32_e32 vcc, v9, v2
	v_cndmask_b32_e32 v9, v1, v9, vcc
	v_lshlrev_b32_e32 v9, 2, v9
	s_waitcnt vmcnt(0)
	ds_bpermute_b32 v10, v9, v0
	s_waitcnt lgkmcnt(0)
	v_max_f32_e32 v10, v10, v10
	v_max_f32_e32 v0, v0, v10
	v_xor_b32_e32 v10, 2, v1
	v_cmp_lt_i32_e32 vcc, v10, v2
	v_cndmask_b32_e32 v10, v1, v10, vcc
	v_lshlrev_b32_e32 v10, 2, v10
	ds_bpermute_b32 v11, v10, v0
	s_waitcnt lgkmcnt(0)
	v_max_f32_e32 v11, v11, v11
	v_max_f32_e32 v0, v0, v11
	v_xor_b32_e32 v11, 1, v1
	v_cmp_lt_i32_e32 vcc, v11, v2
	v_cndmask_b32_e32 v1, v1, v11, vcc
	v_lshlrev_b32_e32 v2, 2, v1
	ds_bpermute_b32 v1, v2, v0
	s_waitcnt lgkmcnt(0)
	v_max_f32_e32 v1, v1, v1
	v_max_f32_e32 v0, v0, v1
	v_sub_f32_e32 v0, v7, v0
	v_mul_f32_e32 v1, 0x3fb8aa3b, v0
	v_fma_f32 v7, v0, s4, -v1
	v_rndne_f32_e32 v11, v1
	v_fmac_f32_e32 v7, 0x32a5705f, v0
	v_sub_f32_e32 v1, v1, v11
	v_add_f32_e32 v1, v1, v7
	v_exp_f32_e32 v1, v1
	v_cvt_i32_f32_e32 v7, v11
	s_mov_b32 s4, 0xc2ce8ed0
	v_cmp_ngt_f32_e32 vcc, s4, v0
	s_mov_b32 s4, 0x42b17218
	v_ldexp_f32 v1, v1, v7
	v_cndmask_b32_e32 v1, 0, v1, vcc
	v_mov_b32_e32 v7, 0x7f800000
	v_cmp_nlt_f32_e32 vcc, s4, v0
	v_cndmask_b32_e32 v0, v7, v1, vcc
	v_cndmask_b32_e64 v1, 0, v0, s[0:1]
	ds_bpermute_b32 v3, v3, v1
	v_mov_b32_e32 v7, 0
	s_waitcnt lgkmcnt(0)
	v_add_f32_e32 v1, v1, v3
	ds_bpermute_b32 v3, v8, v1
	s_waitcnt lgkmcnt(0)
	v_add_f32_e32 v1, v1, v3
	ds_bpermute_b32 v3, v9, v1
	;; [unrolled: 3-line block ×4, first 2 shown]
	s_and_saveexec_b64 s[4:5], s[0:1]
	s_cbranch_execz .LBB16_43
; %bb.42:
	s_waitcnt lgkmcnt(0)
	v_add_f32_e32 v1, v1, v2
	v_div_scale_f32 v2, s[0:1], v1, v1, 1.0
	v_rcp_f32_e32 v3, v2
	v_div_scale_f32 v7, vcc, 1.0, v1, 1.0
	v_fma_f32 v8, -v2, v3, 1.0
	v_fmac_f32_e32 v3, v8, v3
	v_mul_f32_e32 v8, v7, v3
	v_fma_f32 v9, -v2, v8, v7
	v_fmac_f32_e32 v8, v9, v3
	v_fma_f32 v2, -v2, v8, v7
	v_div_fmas_f32 v2, v2, v3, v8
	v_div_fixup_f32 v1, v2, v1, 1.0
	v_mul_f32_e32 v7, v0, v1
.LBB16_43:
	s_or_b64 exec, exec, s[4:5]
	v_cmp_gt_i32_e32 vcc, s9, v6
	s_and_b64 exec, exec, vcc
	s_cbranch_execnz .LBB16_38
	s_branch .LBB16_39
	.section	.rodata,"a",@progbits
	.p2align	6, 0x0
	.amdhsa_kernel _Z13topk_moe_cudaILi32ELb0EEvPKfPfPiS2_iiff15topk_moe_config
		.amdhsa_group_segment_fixed_size 0
		.amdhsa_private_segment_fixed_size 0
		.amdhsa_kernarg_size 312
		.amdhsa_user_sgpr_count 6
		.amdhsa_user_sgpr_private_segment_buffer 1
		.amdhsa_user_sgpr_dispatch_ptr 0
		.amdhsa_user_sgpr_queue_ptr 0
		.amdhsa_user_sgpr_kernarg_segment_ptr 1
		.amdhsa_user_sgpr_dispatch_id 0
		.amdhsa_user_sgpr_flat_scratch_init 0
		.amdhsa_user_sgpr_kernarg_preload_length 0
		.amdhsa_user_sgpr_kernarg_preload_offset 0
		.amdhsa_user_sgpr_private_segment_size 0
		.amdhsa_uses_dynamic_stack 0
		.amdhsa_system_sgpr_private_segment_wavefront_offset 0
		.amdhsa_system_sgpr_workgroup_id_x 1
		.amdhsa_system_sgpr_workgroup_id_y 0
		.amdhsa_system_sgpr_workgroup_id_z 0
		.amdhsa_system_sgpr_workgroup_info 0
		.amdhsa_system_vgpr_workitem_id 1
		.amdhsa_next_free_vgpr 20
		.amdhsa_next_free_sgpr 16
		.amdhsa_accum_offset 20
		.amdhsa_reserve_vcc 1
		.amdhsa_reserve_flat_scratch 0
		.amdhsa_float_round_mode_32 0
		.amdhsa_float_round_mode_16_64 0
		.amdhsa_float_denorm_mode_32 3
		.amdhsa_float_denorm_mode_16_64 3
		.amdhsa_dx10_clamp 1
		.amdhsa_ieee_mode 1
		.amdhsa_fp16_overflow 0
		.amdhsa_tg_split 0
		.amdhsa_exception_fp_ieee_invalid_op 0
		.amdhsa_exception_fp_denorm_src 0
		.amdhsa_exception_fp_ieee_div_zero 0
		.amdhsa_exception_fp_ieee_overflow 0
		.amdhsa_exception_fp_ieee_underflow 0
		.amdhsa_exception_fp_ieee_inexact 0
		.amdhsa_exception_int_div_zero 0
	.end_amdhsa_kernel
	.section	.text._Z13topk_moe_cudaILi32ELb0EEvPKfPfPiS2_iiff15topk_moe_config,"axG",@progbits,_Z13topk_moe_cudaILi32ELb0EEvPKfPfPiS2_iiff15topk_moe_config,comdat
.Lfunc_end16:
	.size	_Z13topk_moe_cudaILi32ELb0EEvPKfPfPiS2_iiff15topk_moe_config, .Lfunc_end16-_Z13topk_moe_cudaILi32ELb0EEvPKfPfPiS2_iiff15topk_moe_config
                                        ; -- End function
	.section	.AMDGPU.csdata,"",@progbits
; Kernel info:
; codeLenInByte = 2636
; NumSgprs: 20
; NumVgprs: 20
; NumAgprs: 0
; TotalNumVgprs: 20
; ScratchSize: 0
; MemoryBound: 0
; FloatMode: 240
; IeeeMode: 1
; LDSByteSize: 0 bytes/workgroup (compile time only)
; SGPRBlocks: 2
; VGPRBlocks: 2
; NumSGPRsForWavesPerEU: 20
; NumVGPRsForWavesPerEU: 20
; AccumOffset: 20
; Occupancy: 8
; WaveLimiterHint : 0
; COMPUTE_PGM_RSRC2:SCRATCH_EN: 0
; COMPUTE_PGM_RSRC2:USER_SGPR: 6
; COMPUTE_PGM_RSRC2:TRAP_HANDLER: 0
; COMPUTE_PGM_RSRC2:TGID_X_EN: 1
; COMPUTE_PGM_RSRC2:TGID_Y_EN: 0
; COMPUTE_PGM_RSRC2:TGID_Z_EN: 0
; COMPUTE_PGM_RSRC2:TIDIG_COMP_CNT: 1
; COMPUTE_PGM_RSRC3_GFX90A:ACCUM_OFFSET: 4
; COMPUTE_PGM_RSRC3_GFX90A:TG_SPLIT: 0
	.section	.text._Z13topk_moe_cudaILi64ELb0EEvPKfPfPiS2_iiff15topk_moe_config,"axG",@progbits,_Z13topk_moe_cudaILi64ELb0EEvPKfPfPiS2_iiff15topk_moe_config,comdat
	.protected	_Z13topk_moe_cudaILi64ELb0EEvPKfPfPiS2_iiff15topk_moe_config ; -- Begin function _Z13topk_moe_cudaILi64ELb0EEvPKfPfPiS2_iiff15topk_moe_config
	.globl	_Z13topk_moe_cudaILi64ELb0EEvPKfPfPiS2_iiff15topk_moe_config
	.p2align	8
	.type	_Z13topk_moe_cudaILi64ELb0EEvPKfPfPiS2_iiff15topk_moe_config,@function
_Z13topk_moe_cudaILi64ELb0EEvPKfPfPiS2_iiff15topk_moe_config: ; @_Z13topk_moe_cudaILi64ELb0EEvPKfPfPiS2_iiff15topk_moe_config
; %bb.0:
	s_load_dword s0, s[4:5], 0x44
	s_load_dwordx4 s[8:11], s[4:5], 0x20
	v_bfe_u32 v1, v0, 10, 10
	s_waitcnt lgkmcnt(0)
	s_lshr_b32 s0, s0, 16
	s_mul_i32 s6, s6, s0
	v_add_u32_e32 v7, s6, v1
	v_cmp_gt_i32_e32 vcc, s8, v7
	s_and_saveexec_b64 s[0:1], vcc
	s_cbranch_execz .LBB17_45
; %bb.1:
	s_load_dwordx4 s[12:15], s[4:5], 0x0
	s_load_dwordx2 s[0:1], s[4:5], 0x10
	v_lshlrev_b32_e32 v2, 6, v7
	v_ashrrev_i32_e32 v3, 31, v2
	v_mov_b32_e32 v1, 0
	v_lshlrev_b64 v[2:3], 2, v[2:3]
	global_load_ushort v9, v1, s[4:5] offset:48
	s_load_dword s2, s[4:5], 0x30
	s_waitcnt lgkmcnt(0)
	v_mov_b32_e32 v1, s13
	v_add_co_u32_e32 v4, vcc, s12, v2
	v_and_b32_e32 v8, 0x3ff, v0
	v_addc_co_u32_e32 v1, vcc, v1, v3, vcc
	v_lshlrev_b32_e32 v6, 2, v8
	v_add_co_u32_e32 v0, vcc, v4, v6
	v_addc_co_u32_e32 v1, vcc, 0, v1, vcc
	global_load_dword v4, v[0:1], off
	global_load_dword v5, v[0:1], off offset:128
	s_bitcmp1_b32 s2, 16
	s_cselect_b64 s[2:3], -1, 0
	s_and_b64 vcc, exec, s[2:3]
	s_cbranch_vccnz .LBB17_7
; %bb.2:
	s_waitcnt vmcnt(2)
	v_and_b32_e32 v0, 1, v9
	v_cmp_eq_u32_e32 vcc, 0, v0
	s_cbranch_vccz .LBB17_4
; %bb.3:
	v_mbcnt_lo_u32_b32 v1, -1, 0
	v_mbcnt_hi_u32_b32 v1, -1, v1
	v_and_b32_e32 v10, 0x60, v1
	v_add_u32_e32 v10, 32, v10
	v_xor_b32_e32 v11, 16, v1
	v_cmp_lt_i32_e32 vcc, v11, v10
	s_mov_b32 s4, 0xff800000
	v_cndmask_b32_e32 v11, v1, v11, vcc
	s_waitcnt vmcnt(0)
	v_max3_f32 v0, v4, s4, v5
	v_lshlrev_b32_e32 v11, 2, v11
	ds_bpermute_b32 v12, v11, v0
	s_mov_b32 s4, 0x3fb8aa3b
	s_mov_b32 s5, 0xc2ce8ed0
	;; [unrolled: 1-line block ×3, first 2 shown]
	s_waitcnt lgkmcnt(0)
	v_max_f32_e32 v12, v12, v12
	v_max_f32_e32 v0, v0, v12
	v_xor_b32_e32 v12, 8, v1
	v_cmp_lt_i32_e32 vcc, v12, v10
	v_cndmask_b32_e32 v12, v1, v12, vcc
	v_lshlrev_b32_e32 v12, 2, v12
	ds_bpermute_b32 v13, v12, v0
	s_waitcnt lgkmcnt(0)
	v_max_f32_e32 v13, v13, v13
	v_max_f32_e32 v0, v0, v13
	v_xor_b32_e32 v13, 4, v1
	v_cmp_lt_i32_e32 vcc, v13, v10
	v_cndmask_b32_e32 v13, v1, v13, vcc
	v_lshlrev_b32_e32 v13, 2, v13
	ds_bpermute_b32 v14, v13, v0
	s_waitcnt lgkmcnt(0)
	v_max_f32_e32 v14, v14, v14
	v_max_f32_e32 v0, v0, v14
	v_xor_b32_e32 v14, 2, v1
	v_cmp_lt_i32_e32 vcc, v14, v10
	v_cndmask_b32_e32 v14, v1, v14, vcc
	v_lshlrev_b32_e32 v14, 2, v14
	ds_bpermute_b32 v15, v14, v0
	s_waitcnt lgkmcnt(0)
	v_max_f32_e32 v15, v15, v15
	v_max_f32_e32 v0, v0, v15
	v_xor_b32_e32 v15, 1, v1
	v_cmp_lt_i32_e32 vcc, v15, v10
	v_cndmask_b32_e32 v1, v1, v15, vcc
	v_lshlrev_b32_e32 v10, 2, v1
	ds_bpermute_b32 v1, v10, v0
	s_waitcnt lgkmcnt(0)
	v_max_f32_e32 v1, v1, v1
	v_max_f32_e32 v0, v0, v1
	v_pk_add_f32 v[0:1], v[4:5], v[0:1] op_sel_hi:[1,0] neg_lo:[0,1] neg_hi:[0,1]
	v_mul_f32_e32 v15, 0x3fb8aa3b, v1
	v_fma_f32 v16, v1, s4, -v15
	v_rndne_f32_e32 v17, v15
	v_fmac_f32_e32 v16, 0x32a5705f, v1
	v_sub_f32_e32 v15, v15, v17
	v_add_f32_e32 v15, v15, v16
	v_exp_f32_e32 v15, v15
	v_cvt_i32_f32_e32 v16, v17
	v_cmp_ngt_f32_e32 vcc, s5, v1
	v_ldexp_f32 v15, v15, v16
	v_mul_f32_e32 v16, 0x3fb8aa3b, v0
	v_fma_f32 v17, v0, s4, -v16
	v_rndne_f32_e32 v18, v16
	v_fmac_f32_e32 v17, 0x32a5705f, v0
	v_sub_f32_e32 v16, v16, v18
	v_add_f32_e32 v16, v16, v17
	v_exp_f32_e32 v16, v16
	v_cvt_i32_f32_e32 v17, v18
	v_cndmask_b32_e32 v15, 0, v15, vcc
	v_mov_b32_e32 v18, 0x7f800000
	v_cmp_nlt_f32_e32 vcc, s6, v1
	v_cndmask_b32_e32 v1, v18, v15, vcc
	v_ldexp_f32 v15, v16, v17
	v_cmp_ngt_f32_e32 vcc, s5, v0
	v_cndmask_b32_e32 v15, 0, v15, vcc
	v_cmp_nlt_f32_e32 vcc, s6, v0
	v_cndmask_b32_e32 v0, v18, v15, vcc
	v_add_f32_e32 v15, v0, v1
	ds_bpermute_b32 v11, v11, v15
	s_waitcnt lgkmcnt(0)
	v_add_f32_e32 v11, v15, v11
	ds_bpermute_b32 v12, v12, v11
	s_waitcnt lgkmcnt(0)
	;; [unrolled: 3-line block ×5, first 2 shown]
	v_add_f32_e32 v10, v11, v10
	v_div_scale_f32 v11, s[4:5], v10, v10, 1.0
	v_rcp_f32_e32 v12, v11
	v_div_scale_f32 v13, vcc, 1.0, v10, 1.0
	v_fma_f32 v14, -v11, v12, 1.0
	v_fmac_f32_e32 v12, v14, v12
	v_mul_f32_e32 v14, v13, v12
	v_fma_f32 v15, -v11, v14, v13
	v_fmac_f32_e32 v14, v15, v12
	v_fma_f32 v11, -v11, v14, v13
	v_div_fmas_f32 v11, v11, v12, v14
	v_div_fixup_f32 v10, v11, v10, 1.0
	v_pk_mul_f32 v[0:1], v[0:1], v[10:11] op_sel_hi:[1,0]
	s_cbranch_execz .LBB17_5
	s_branch .LBB17_6
.LBB17_4:
                                        ; implicit-def: $vgpr1
.LBB17_5:
	s_waitcnt vmcnt(0)
	v_mul_f32_e32 v0, 0xbfb8aa3b, v5
	s_mov_b32 s4, 0xbfb8aa3b
	v_rndne_f32_e32 v1, v0
	v_sub_f32_e32 v10, v0, v1
	v_fma_f32 v0, v5, s4, -v0
	v_fmac_f32_e32 v0, 0xb2a5705f, v5
	v_add_f32_e32 v0, v10, v0
	v_exp_f32_e32 v0, v0
	v_cvt_i32_f32_e32 v1, v1
	s_mov_b32 s5, 0x42ce8ed0
	v_cmp_nlt_f32_e32 vcc, s5, v5
	s_mov_b32 s6, 0xc2b17218
	v_ldexp_f32 v0, v0, v1
	v_mul_f32_e32 v1, 0xbfb8aa3b, v4
	v_rndne_f32_e32 v10, v1
	v_sub_f32_e32 v11, v1, v10
	v_fma_f32 v1, v4, s4, -v1
	v_fmac_f32_e32 v1, 0xb2a5705f, v4
	v_add_f32_e32 v1, v11, v1
	v_exp_f32_e32 v11, v1
	v_cvt_i32_f32_e32 v10, v10
	v_cndmask_b32_e32 v0, 0, v0, vcc
	v_mov_b32_e32 v12, 0x7f800000
	v_cmp_ngt_f32_e32 vcc, s6, v5
	v_cndmask_b32_e32 v1, v12, v0, vcc
	v_ldexp_f32 v0, v11, v10
	v_cmp_nlt_f32_e32 vcc, s5, v4
	v_cndmask_b32_e32 v0, 0, v0, vcc
	v_cmp_ngt_f32_e32 vcc, s6, v4
	v_cndmask_b32_e32 v0, v12, v0, vcc
	v_pk_add_f32 v[0:1], v[0:1], 1.0 op_sel_hi:[1,0]
	v_div_scale_f32 v4, s[4:5], v0, v0, 1.0
	v_rcp_f32_e32 v5, v4
	v_fma_f32 v10, -v4, v5, 1.0
	v_fmac_f32_e32 v5, v10, v5
	v_div_scale_f32 v10, vcc, 1.0, v0, 1.0
	v_mul_f32_e32 v11, v10, v5
	v_fma_f32 v12, -v4, v11, v10
	v_fmac_f32_e32 v11, v12, v5
	v_fma_f32 v4, -v4, v11, v10
	v_div_scale_f32 v10, s[4:5], v1, v1, 1.0
	v_rcp_f32_e32 v12, v10
	v_div_fmas_f32 v4, v4, v5, v11
	v_div_fixup_f32 v0, v4, v0, 1.0
	v_fma_f32 v4, -v10, v12, 1.0
	v_fmac_f32_e32 v12, v4, v12
	v_div_scale_f32 v4, vcc, 1.0, v1, 1.0
	v_mul_f32_e32 v5, v4, v12
	v_fma_f32 v11, -v10, v5, v4
	v_fmac_f32_e32 v5, v11, v12
	v_fma_f32 v4, -v10, v5, v4
	v_div_fmas_f32 v4, v4, v12, v5
	v_div_fixup_f32 v1, v4, v1, 1.0
.LBB17_6:
	s_waitcnt vmcnt(1)
	v_mov_b32_e32 v4, v0
	s_waitcnt vmcnt(0)
	v_mov_b32_e32 v5, v1
.LBB17_7:
	s_waitcnt vmcnt(2)
	v_lshrrev_b16_e32 v0, 8, v9
	s_cmp_gt_i32 s9, 0
	v_readfirstlane_b32 s16, v0
	s_cbranch_scc1 .LBB17_9
; %bb.8:
	s_mov_b32 s6, 0
	s_bitcmp1_b32 s16, 0
	s_mov_b32 s7, s6
	s_mov_b64 s[12:13], 0
	s_cselect_b64 s[4:5], -1, 0
	s_branch .LBB17_10
.LBB17_9:
	s_mov_b64 s[12:13], -1
                                        ; implicit-def: $sgpr6
                                        ; implicit-def: $sgpr4_sgpr5
.LBB17_10:
	v_add_u32_e32 v9, 32, v8
	s_andn2_b64 vcc, exec, s[12:13]
	v_mov_b32_e32 v11, s6
	v_pk_mov_b32 v[0:1], s[6:7], s[6:7] op_sel:[0,1]
	v_mbcnt_lo_u32_b32 v10, -1, 0
	s_cbranch_vccnz .LBB17_37
; %bb.11:
	v_mov_b32_e32 v0, s1
	v_add_co_u32_e32 v2, vcc, s0, v2
	v_addc_co_u32_e32 v3, vcc, v0, v3, vcc
	v_mov_b32_e32 v0, 0xff7fffff
	s_waitcnt vmcnt(1)
	v_cmp_o_f32_e32 vcc, v4, v4
	v_cndmask_b32_e32 v4, v0, v4, vcc
	s_waitcnt vmcnt(0)
	v_cmp_o_f32_e32 vcc, v5, v5
	v_cndmask_b32_e32 v5, v0, v5, vcc
	v_mbcnt_hi_u32_b32 v0, -1, v10
	v_and_b32_e32 v1, 0x60, v0
	v_add_u32_e32 v1, 32, v1
	v_xor_b32_e32 v11, 16, v0
	v_cmp_lt_i32_e32 vcc, v11, v1
	v_cndmask_b32_e32 v11, v0, v11, vcc
	v_lshlrev_b32_e32 v12, 2, v11
	v_xor_b32_e32 v11, 8, v0
	v_cmp_lt_i32_e32 vcc, v11, v1
	v_cndmask_b32_e32 v11, v0, v11, vcc
	v_lshlrev_b32_e32 v13, 2, v11
	;; [unrolled: 4-line block ×4, first 2 shown]
	v_xor_b32_e32 v11, 1, v0
	v_cmp_lt_i32_e32 vcc, v11, v1
	s_bitcmp1_b32 s16, 0
	v_cndmask_b32_e32 v0, v0, v11, vcc
	s_mov_b32 s8, 0
	s_cselect_b64 s[4:5], -1, 0
	v_lshlrev_b32_e32 v16, 2, v0
	v_mov_b32_e32 v11, 0
	v_mov_b32_e32 v17, 0xff800000
	;; [unrolled: 1-line block ×4, first 2 shown]
	s_branch .LBB17_13
.LBB17_12:                              ;   in Loop: Header=BB17_13 Depth=1
	s_or_b64 exec, exec, s[0:1]
	s_and_b32 s0, s8, 31
	s_lshr_b32 s1, s8, 5
	s_cmp_eq_u32 s1, 0
	s_cselect_b64 vcc, -1, 0
	s_cmp_eq_u32 s1, 1
	v_cndmask_b32_e32 v19, v0, v18, vcc
	s_cselect_b64 vcc, -1, 0
	v_cndmask_b32_e32 v18, v1, v18, vcc
	v_cmp_eq_u32_e32 vcc, s0, v8
	v_cndmask_b32_e32 v1, v1, v18, vcc
	v_cndmask_b32_e32 v0, v0, v19, vcc
	s_add_i32 s8, s8, 1
	v_add_co_u32_e32 v2, vcc, 4, v2
	s_cmp_eq_u32 s9, s8
	v_addc_co_u32_e32 v3, vcc, 0, v3, vcc
	s_cbranch_scc1 .LBB17_37
.LBB17_13:                              ; =>This Inner Loop Header: Depth=1
	v_cmp_gt_f32_e32 vcc, v5, v4
	v_cndmask_b32_e32 v18, v4, v5, vcc
	ds_bpermute_b32 v20, v12, v18
	v_cndmask_b32_e32 v19, v8, v9, vcc
	s_waitcnt lgkmcnt(1)
	ds_bpermute_b32 v21, v12, v19
	s_waitcnt lgkmcnt(1)
	v_cmp_lt_f32_e64 s[6:7], v18, v20
	v_cmp_nlt_f32_e32 vcc, v18, v20
	s_and_saveexec_b64 s[12:13], vcc
	s_cbranch_execz .LBB17_15
; %bb.14:                               ;   in Loop: Header=BB17_13 Depth=1
	v_cmp_eq_f32_e32 vcc, v18, v20
	s_waitcnt lgkmcnt(0)
	v_cmp_lt_i32_e64 s[0:1], v21, v19
	s_and_b64 s[0:1], vcc, s[0:1]
	s_andn2_b64 s[6:7], s[6:7], exec
	s_and_b64 s[0:1], s[0:1], exec
	s_or_b64 s[6:7], s[6:7], s[0:1]
.LBB17_15:                              ;   in Loop: Header=BB17_13 Depth=1
	s_or_b64 exec, exec, s[12:13]
	s_and_saveexec_b64 s[0:1], s[6:7]
	s_cbranch_execz .LBB17_17
; %bb.16:                               ;   in Loop: Header=BB17_13 Depth=1
	v_mov_b32_e32 v18, v20
	s_waitcnt lgkmcnt(0)
	v_mov_b32_e32 v19, v21
.LBB17_17:                              ;   in Loop: Header=BB17_13 Depth=1
	s_or_b64 exec, exec, s[0:1]
	s_waitcnt lgkmcnt(0)
	ds_bpermute_b32 v21, v13, v18
	ds_bpermute_b32 v20, v13, v19
	s_waitcnt lgkmcnt(1)
	v_cmp_lt_f32_e64 s[6:7], v18, v21
	v_cmp_nlt_f32_e32 vcc, v18, v21
	s_and_saveexec_b64 s[12:13], vcc
	s_cbranch_execz .LBB17_19
; %bb.18:                               ;   in Loop: Header=BB17_13 Depth=1
	v_cmp_eq_f32_e32 vcc, v18, v21
	s_waitcnt lgkmcnt(0)
	v_cmp_lt_i32_e64 s[0:1], v20, v19
	s_and_b64 s[0:1], vcc, s[0:1]
	s_andn2_b64 s[6:7], s[6:7], exec
	s_and_b64 s[0:1], s[0:1], exec
	s_or_b64 s[6:7], s[6:7], s[0:1]
.LBB17_19:                              ;   in Loop: Header=BB17_13 Depth=1
	s_or_b64 exec, exec, s[12:13]
	s_and_saveexec_b64 s[0:1], s[6:7]
	s_cbranch_execz .LBB17_21
; %bb.20:                               ;   in Loop: Header=BB17_13 Depth=1
	v_mov_b32_e32 v18, v21
	s_waitcnt lgkmcnt(0)
	v_mov_b32_e32 v19, v20
.LBB17_21:                              ;   in Loop: Header=BB17_13 Depth=1
	s_or_b64 exec, exec, s[0:1]
	ds_bpermute_b32 v21, v14, v18
	s_waitcnt lgkmcnt(1)
	ds_bpermute_b32 v20, v14, v19
	s_waitcnt lgkmcnt(1)
	v_cmp_lt_f32_e64 s[6:7], v18, v21
	v_cmp_nlt_f32_e32 vcc, v18, v21
	s_and_saveexec_b64 s[12:13], vcc
	s_cbranch_execz .LBB17_23
; %bb.22:                               ;   in Loop: Header=BB17_13 Depth=1
	v_cmp_eq_f32_e32 vcc, v18, v21
	s_waitcnt lgkmcnt(0)
	v_cmp_lt_i32_e64 s[0:1], v20, v19
	s_and_b64 s[0:1], vcc, s[0:1]
	s_andn2_b64 s[6:7], s[6:7], exec
	s_and_b64 s[0:1], s[0:1], exec
	s_or_b64 s[6:7], s[6:7], s[0:1]
.LBB17_23:                              ;   in Loop: Header=BB17_13 Depth=1
	s_or_b64 exec, exec, s[12:13]
	s_and_saveexec_b64 s[0:1], s[6:7]
	s_cbranch_execz .LBB17_25
; %bb.24:                               ;   in Loop: Header=BB17_13 Depth=1
	v_mov_b32_e32 v18, v21
	s_waitcnt lgkmcnt(0)
	v_mov_b32_e32 v19, v20
.LBB17_25:                              ;   in Loop: Header=BB17_13 Depth=1
	s_or_b64 exec, exec, s[0:1]
	ds_bpermute_b32 v21, v15, v18
	s_waitcnt lgkmcnt(1)
	ds_bpermute_b32 v20, v15, v19
	s_waitcnt lgkmcnt(1)
	v_cmp_lt_f32_e64 s[6:7], v18, v21
	v_cmp_nlt_f32_e32 vcc, v18, v21
	s_and_saveexec_b64 s[12:13], vcc
	s_cbranch_execz .LBB17_27
; %bb.26:                               ;   in Loop: Header=BB17_13 Depth=1
	v_cmp_eq_f32_e32 vcc, v18, v21
	s_waitcnt lgkmcnt(0)
	v_cmp_lt_i32_e64 s[0:1], v20, v19
	s_and_b64 s[0:1], vcc, s[0:1]
	s_andn2_b64 s[6:7], s[6:7], exec
	s_and_b64 s[0:1], s[0:1], exec
	s_or_b64 s[6:7], s[6:7], s[0:1]
.LBB17_27:                              ;   in Loop: Header=BB17_13 Depth=1
	s_or_b64 exec, exec, s[12:13]
	s_and_saveexec_b64 s[0:1], s[6:7]
	s_cbranch_execz .LBB17_29
; %bb.28:                               ;   in Loop: Header=BB17_13 Depth=1
	v_mov_b32_e32 v18, v21
	s_waitcnt lgkmcnt(0)
	v_mov_b32_e32 v19, v20
.LBB17_29:                              ;   in Loop: Header=BB17_13 Depth=1
	s_or_b64 exec, exec, s[0:1]
	s_waitcnt lgkmcnt(0)
	ds_bpermute_b32 v20, v16, v18
	ds_bpermute_b32 v21, v16, v19
	s_waitcnt lgkmcnt(1)
	v_cmp_lt_f32_e64 s[6:7], v18, v20
	v_cmp_nlt_f32_e32 vcc, v18, v20
	s_and_saveexec_b64 s[12:13], vcc
	s_cbranch_execz .LBB17_31
; %bb.30:                               ;   in Loop: Header=BB17_13 Depth=1
	v_cmp_eq_f32_e32 vcc, v18, v20
	s_waitcnt lgkmcnt(0)
	v_cmp_lt_i32_e64 s[0:1], v21, v19
	s_and_b64 s[0:1], vcc, s[0:1]
	s_andn2_b64 s[6:7], s[6:7], exec
	s_and_b64 s[0:1], s[0:1], exec
	s_or_b64 s[6:7], s[6:7], s[0:1]
.LBB17_31:                              ;   in Loop: Header=BB17_13 Depth=1
	s_or_b64 exec, exec, s[12:13]
	s_and_saveexec_b64 s[0:1], s[6:7]
	s_cbranch_execz .LBB17_33
; %bb.32:                               ;   in Loop: Header=BB17_13 Depth=1
	v_mov_b32_e32 v18, v20
	s_waitcnt lgkmcnt(0)
	v_mov_b32_e32 v19, v21
.LBB17_33:                              ;   in Loop: Header=BB17_13 Depth=1
	s_or_b64 exec, exec, s[0:1]
	v_and_b32_e32 v20, 31, v19
	v_cmp_eq_u32_e32 vcc, v20, v8
	s_and_saveexec_b64 s[6:7], vcc
; %bb.34:                               ;   in Loop: Header=BB17_13 Depth=1
	v_ashrrev_i32_e32 v20, 31, v19
	v_lshrrev_b32_e32 v20, 27, v20
	v_add_u32_e32 v20, v19, v20
	v_ashrrev_i32_e32 v20, 5, v20
	v_cmp_ne_u32_e64 s[0:1], 1, v20
	v_cndmask_b32_e64 v5, v17, v5, s[0:1]
	v_cmp_ne_u32_e64 s[0:1], 0, v20
	v_cndmask_b32_e64 v4, v17, v4, s[0:1]
; %bb.35:                               ;   in Loop: Header=BB17_13 Depth=1
	s_or_b64 exec, exec, s[6:7]
	s_and_saveexec_b64 s[0:1], vcc
	s_cbranch_execz .LBB17_12
; %bb.36:                               ;   in Loop: Header=BB17_13 Depth=1
	v_add_f32_e32 v20, v11, v18
	v_cndmask_b32_e64 v11, v11, v20, s[4:5]
	global_store_dword v[2:3], v19, off
	s_branch .LBB17_12
.LBB17_37:
	s_and_b64 vcc, exec, s[4:5]
	s_cbranch_vccz .LBB17_39
; %bb.38:
	v_mbcnt_hi_u32_b32 v2, -1, v10
	v_and_b32_e32 v3, 0x60, v2
	v_add_u32_e32 v3, 32, v3
	s_waitcnt vmcnt(1)
	v_xor_b32_e32 v4, 16, v2
	v_cmp_lt_i32_e32 vcc, v4, v3
	v_cndmask_b32_e32 v4, v2, v4, vcc
	v_lshlrev_b32_e32 v4, 2, v4
	ds_bpermute_b32 v4, v4, v11
	s_waitcnt vmcnt(0)
	v_xor_b32_e32 v5, 8, v2
	v_cmp_lt_i32_e32 vcc, v5, v3
	v_cndmask_b32_e32 v5, v2, v5, vcc
	v_lshlrev_b32_e32 v5, 2, v5
	s_waitcnt lgkmcnt(0)
	v_add_f32_e32 v4, v11, v4
	ds_bpermute_b32 v5, v5, v4
	v_xor_b32_e32 v11, 4, v2
	v_cmp_lt_i32_e32 vcc, v11, v3
	s_waitcnt lgkmcnt(0)
	v_add_f32_e32 v4, v4, v5
	v_cndmask_b32_e32 v5, v2, v11, vcc
	v_lshlrev_b32_e32 v5, 2, v5
	ds_bpermute_b32 v5, v5, v4
	v_xor_b32_e32 v11, 2, v2
	v_cmp_lt_i32_e32 vcc, v11, v3
	s_waitcnt lgkmcnt(0)
	v_add_f32_e32 v4, v4, v5
	v_cndmask_b32_e32 v5, v2, v11, vcc
	v_lshlrev_b32_e32 v5, 2, v5
	ds_bpermute_b32 v5, v5, v4
	v_xor_b32_e32 v11, 1, v2
	v_cmp_lt_i32_e32 vcc, v11, v3
	v_cndmask_b32_e32 v2, v2, v11, vcc
	v_lshlrev_b32_e32 v2, 2, v2
	s_waitcnt lgkmcnt(0)
	v_add_f32_e32 v4, v4, v5
	ds_bpermute_b32 v2, v2, v4
	v_max_f32_e64 v3, s10, s10
	s_waitcnt lgkmcnt(0)
	v_add_f32_e32 v2, v4, v2
	v_max_f32_e32 v2, v2, v3
	v_div_scale_f32 v3, s[0:1], v2, v2, 1.0
	v_rcp_f32_e32 v4, v3
	v_div_scale_f32 v5, vcc, 1.0, v2, 1.0
	v_fma_f32 v11, -v3, v4, 1.0
	v_fmac_f32_e32 v4, v11, v4
	v_mul_f32_e32 v11, v5, v4
	v_fma_f32 v12, -v3, v11, v5
	v_fmac_f32_e32 v11, v12, v4
	v_fma_f32 v3, -v3, v11, v5
	v_div_fmas_f32 v3, v3, v4, v11
	v_div_fixup_f32 v2, v3, v2, 1.0
	v_pk_mul_f32 v[0:1], v[2:3], v[0:1] op_sel_hi:[0,1]
.LBB17_39:
	s_andn2_b64 vcc, exec, s[2:3]
	v_cmp_gt_i32_e64 s[0:1], s9, v9
	v_cmp_gt_i32_e64 s[2:3], s9, v8
	s_cbranch_vccnz .LBB17_41
; %bb.40:
	v_max_f32_e32 v2, v0, v0
	v_max_f32_e32 v2, 0xff800000, v2
	v_mov_b32_e32 v3, 0xff800000
	v_cndmask_b32_e64 v2, v3, v2, s[2:3]
	v_max_f32_e32 v3, v1, v1
	v_max_f32_e32 v3, v2, v3
	v_cndmask_b32_e64 v2, v2, v3, s[0:1]
	v_mbcnt_hi_u32_b32 v3, -1, v10
	s_waitcnt vmcnt(1)
	v_and_b32_e32 v4, 0x60, v3
	v_add_u32_e32 v4, 32, v4
	s_waitcnt vmcnt(0)
	v_xor_b32_e32 v5, 16, v3
	v_cmp_lt_i32_e32 vcc, v5, v4
	v_cndmask_b32_e32 v5, v3, v5, vcc
	v_lshlrev_b32_e32 v5, 2, v5
	ds_bpermute_b32 v10, v5, v2
	s_mov_b32 s4, 0x3fb8aa3b
	s_mov_b32 s5, 0xc2ce8ed0
	;; [unrolled: 1-line block ×3, first 2 shown]
	s_waitcnt lgkmcnt(0)
	v_max_f32_e32 v10, v10, v10
	v_max_f32_e32 v2, v2, v10
	v_xor_b32_e32 v10, 8, v3
	v_cmp_lt_i32_e32 vcc, v10, v4
	v_cndmask_b32_e32 v10, v3, v10, vcc
	v_lshlrev_b32_e32 v10, 2, v10
	ds_bpermute_b32 v11, v10, v2
	s_waitcnt lgkmcnt(0)
	v_max_f32_e32 v11, v11, v11
	v_max_f32_e32 v2, v2, v11
	v_xor_b32_e32 v11, 4, v3
	v_cmp_lt_i32_e32 vcc, v11, v4
	v_cndmask_b32_e32 v11, v3, v11, vcc
	v_lshlrev_b32_e32 v11, 2, v11
	ds_bpermute_b32 v12, v11, v2
	;; [unrolled: 8-line block ×4, first 2 shown]
	s_waitcnt lgkmcnt(0)
	v_max_f32_e32 v4, v4, v4
	v_max_f32_e32 v2, v2, v4
	v_sub_f32_e32 v0, v0, v2
	v_mul_f32_e32 v4, 0x3fb8aa3b, v0
	v_fma_f32 v13, v0, s4, -v4
	v_rndne_f32_e32 v14, v4
	v_sub_f32_e32 v1, v1, v2
	v_fmac_f32_e32 v13, 0x32a5705f, v0
	v_sub_f32_e32 v4, v4, v14
	v_mul_f32_e32 v2, 0x3fb8aa3b, v1
	v_add_f32_e32 v4, v4, v13
	v_cvt_i32_f32_e32 v13, v14
	v_fma_f32 v14, v1, s4, -v2
	v_rndne_f32_e32 v15, v2
	v_exp_f32_e32 v4, v4
	v_fmac_f32_e32 v14, 0x32a5705f, v1
	v_sub_f32_e32 v2, v2, v15
	v_add_f32_e32 v2, v2, v14
	v_exp_f32_e32 v2, v2
	v_cvt_i32_f32_e32 v14, v15
	v_ldexp_f32 v4, v4, v13
	v_cmp_ngt_f32_e32 vcc, s5, v0
	v_cndmask_b32_e32 v4, 0, v4, vcc
	v_mov_b32_e32 v13, 0x7f800000
	v_cmp_nlt_f32_e32 vcc, s6, v0
	v_cndmask_b32_e32 v0, v13, v4, vcc
	v_ldexp_f32 v2, v2, v14
	v_cmp_ngt_f32_e32 vcc, s5, v1
	v_cndmask_b32_e32 v2, 0, v2, vcc
	v_cmp_nlt_f32_e32 vcc, s6, v1
	v_cndmask_b32_e64 v0, 0, v0, s[2:3]
	v_cndmask_b32_e32 v1, v13, v2, vcc
	v_add_f32_e32 v2, v1, v0
	v_cndmask_b32_e64 v2, v0, v2, s[0:1]
	ds_bpermute_b32 v4, v5, v2
	v_cndmask_b32_e64 v1, 0, v1, s[0:1]
	s_waitcnt lgkmcnt(0)
	v_add_f32_e32 v2, v2, v4
	ds_bpermute_b32 v4, v10, v2
	s_waitcnt lgkmcnt(0)
	v_add_f32_e32 v2, v2, v4
	ds_bpermute_b32 v4, v11, v2
	s_waitcnt lgkmcnt(0)
	v_add_f32_e32 v2, v2, v4
	ds_bpermute_b32 v4, v12, v2
	s_waitcnt lgkmcnt(0)
	v_add_f32_e32 v2, v2, v4
	ds_bpermute_b32 v3, v3, v2
	s_waitcnt lgkmcnt(0)
	v_add_f32_e32 v2, v2, v3
	v_div_scale_f32 v3, s[4:5], v2, v2, 1.0
	v_rcp_f32_e32 v4, v3
	v_fma_f32 v5, -v3, v4, 1.0
	v_fmac_f32_e32 v4, v5, v4
	v_div_scale_f32 v5, vcc, 1.0, v2, 1.0
	v_mul_f32_e32 v10, v5, v4
	v_fma_f32 v11, -v3, v10, v5
	v_fmac_f32_e32 v10, v11, v4
	v_fma_f32 v3, -v3, v10, v5
	v_div_fmas_f32 v3, v3, v4, v10
	v_div_fixup_f32 v2, v3, v2, 1.0
	v_mul_f32_e32 v3, v0, v2
	v_mul_f32_e32 v2, v1, v2
	v_cndmask_b32_e64 v0, v0, v3, s[2:3]
	v_cndmask_b32_e64 v1, v1, v2, s[0:1]
.LBB17_41:
	v_mul_lo_u32 v2, v7, s9
	v_ashrrev_i32_e32 v3, 31, v2
	v_lshlrev_b64 v[2:3], 2, v[2:3]
	s_waitcnt vmcnt(1)
	v_mov_b32_e32 v4, s15
	v_add_co_u32_e32 v2, vcc, s14, v2
	v_addc_co_u32_e32 v3, vcc, v4, v3, vcc
	v_cmp_gt_i32_e32 vcc, s9, v8
	s_and_saveexec_b64 s[0:1], vcc
	s_cbranch_execz .LBB17_43
; %bb.42:
	v_add_co_u32_e32 v4, vcc, v2, v6
	s_waitcnt vmcnt(0)
	v_addc_co_u32_e32 v5, vcc, 0, v3, vcc
	v_mul_f32_e32 v0, s11, v0
	global_store_dword v[4:5], v0, off
.LBB17_43:
	s_or_b64 exec, exec, s[0:1]
	v_cmp_gt_i32_e32 vcc, s9, v9
	s_and_b64 exec, exec, vcc
	s_cbranch_execz .LBB17_45
; %bb.44:
	v_add_co_u32_e32 v2, vcc, v2, v6
	v_addc_co_u32_e32 v3, vcc, 0, v3, vcc
	v_mul_f32_e32 v0, s11, v1
	global_store_dword v[2:3], v0, off offset:128
.LBB17_45:
	s_endpgm
	.section	.rodata,"a",@progbits
	.p2align	6, 0x0
	.amdhsa_kernel _Z13topk_moe_cudaILi64ELb0EEvPKfPfPiS2_iiff15topk_moe_config
		.amdhsa_group_segment_fixed_size 0
		.amdhsa_private_segment_fixed_size 0
		.amdhsa_kernarg_size 312
		.amdhsa_user_sgpr_count 6
		.amdhsa_user_sgpr_private_segment_buffer 1
		.amdhsa_user_sgpr_dispatch_ptr 0
		.amdhsa_user_sgpr_queue_ptr 0
		.amdhsa_user_sgpr_kernarg_segment_ptr 1
		.amdhsa_user_sgpr_dispatch_id 0
		.amdhsa_user_sgpr_flat_scratch_init 0
		.amdhsa_user_sgpr_kernarg_preload_length 0
		.amdhsa_user_sgpr_kernarg_preload_offset 0
		.amdhsa_user_sgpr_private_segment_size 0
		.amdhsa_uses_dynamic_stack 0
		.amdhsa_system_sgpr_private_segment_wavefront_offset 0
		.amdhsa_system_sgpr_workgroup_id_x 1
		.amdhsa_system_sgpr_workgroup_id_y 0
		.amdhsa_system_sgpr_workgroup_id_z 0
		.amdhsa_system_sgpr_workgroup_info 0
		.amdhsa_system_vgpr_workitem_id 1
		.amdhsa_next_free_vgpr 22
		.amdhsa_next_free_sgpr 17
		.amdhsa_accum_offset 24
		.amdhsa_reserve_vcc 1
		.amdhsa_reserve_flat_scratch 0
		.amdhsa_float_round_mode_32 0
		.amdhsa_float_round_mode_16_64 0
		.amdhsa_float_denorm_mode_32 3
		.amdhsa_float_denorm_mode_16_64 3
		.amdhsa_dx10_clamp 1
		.amdhsa_ieee_mode 1
		.amdhsa_fp16_overflow 0
		.amdhsa_tg_split 0
		.amdhsa_exception_fp_ieee_invalid_op 0
		.amdhsa_exception_fp_denorm_src 0
		.amdhsa_exception_fp_ieee_div_zero 0
		.amdhsa_exception_fp_ieee_overflow 0
		.amdhsa_exception_fp_ieee_underflow 0
		.amdhsa_exception_fp_ieee_inexact 0
		.amdhsa_exception_int_div_zero 0
	.end_amdhsa_kernel
	.section	.text._Z13topk_moe_cudaILi64ELb0EEvPKfPfPiS2_iiff15topk_moe_config,"axG",@progbits,_Z13topk_moe_cudaILi64ELb0EEvPKfPfPiS2_iiff15topk_moe_config,comdat
.Lfunc_end17:
	.size	_Z13topk_moe_cudaILi64ELb0EEvPKfPfPiS2_iiff15topk_moe_config, .Lfunc_end17-_Z13topk_moe_cudaILi64ELb0EEvPKfPfPiS2_iiff15topk_moe_config
                                        ; -- End function
	.section	.AMDGPU.csdata,"",@progbits
; Kernel info:
; codeLenInByte = 3116
; NumSgprs: 21
; NumVgprs: 22
; NumAgprs: 0
; TotalNumVgprs: 22
; ScratchSize: 0
; MemoryBound: 0
; FloatMode: 240
; IeeeMode: 1
; LDSByteSize: 0 bytes/workgroup (compile time only)
; SGPRBlocks: 2
; VGPRBlocks: 2
; NumSGPRsForWavesPerEU: 21
; NumVGPRsForWavesPerEU: 22
; AccumOffset: 24
; Occupancy: 8
; WaveLimiterHint : 1
; COMPUTE_PGM_RSRC2:SCRATCH_EN: 0
; COMPUTE_PGM_RSRC2:USER_SGPR: 6
; COMPUTE_PGM_RSRC2:TRAP_HANDLER: 0
; COMPUTE_PGM_RSRC2:TGID_X_EN: 1
; COMPUTE_PGM_RSRC2:TGID_Y_EN: 0
; COMPUTE_PGM_RSRC2:TGID_Z_EN: 0
; COMPUTE_PGM_RSRC2:TIDIG_COMP_CNT: 1
; COMPUTE_PGM_RSRC3_GFX90A:ACCUM_OFFSET: 5
; COMPUTE_PGM_RSRC3_GFX90A:TG_SPLIT: 0
	.section	.text._Z13topk_moe_cudaILi128ELb0EEvPKfPfPiS2_iiff15topk_moe_config,"axG",@progbits,_Z13topk_moe_cudaILi128ELb0EEvPKfPfPiS2_iiff15topk_moe_config,comdat
	.protected	_Z13topk_moe_cudaILi128ELb0EEvPKfPfPiS2_iiff15topk_moe_config ; -- Begin function _Z13topk_moe_cudaILi128ELb0EEvPKfPfPiS2_iiff15topk_moe_config
	.globl	_Z13topk_moe_cudaILi128ELb0EEvPKfPfPiS2_iiff15topk_moe_config
	.p2align	8
	.type	_Z13topk_moe_cudaILi128ELb0EEvPKfPfPiS2_iiff15topk_moe_config,@function
_Z13topk_moe_cudaILi128ELb0EEvPKfPfPiS2_iiff15topk_moe_config: ; @_Z13topk_moe_cudaILi128ELb0EEvPKfPfPiS2_iiff15topk_moe_config
; %bb.0:
	s_load_dword s0, s[4:5], 0x44
	s_load_dwordx4 s[8:11], s[4:5], 0x20
	v_bfe_u32 v1, v0, 10, 10
	s_waitcnt lgkmcnt(0)
	s_lshr_b32 s0, s0, 16
	s_mul_i32 s6, s6, s0
	v_add_u32_e32 v13, s6, v1
	v_cmp_gt_i32_e32 vcc, s8, v13
	s_and_saveexec_b64 s[0:1], vcc
	s_cbranch_execz .LBB18_46
; %bb.1:
	s_load_dwordx4 s[12:15], s[4:5], 0x0
	s_load_dwordx2 s[6:7], s[4:5], 0x10
	v_lshlrev_b32_e32 v2, 7, v13
	v_ashrrev_i32_e32 v3, 31, v2
	v_mov_b32_e32 v1, 0
	v_lshlrev_b64 v[4:5], 2, v[2:3]
	global_load_ushort v8, v1, s[4:5] offset:48
	s_load_dword s0, s[4:5], 0x30
	s_waitcnt lgkmcnt(0)
	v_mov_b32_e32 v1, s13
	v_add_co_u32_e32 v2, vcc, s12, v4
	v_and_b32_e32 v14, 0x3ff, v0
	v_addc_co_u32_e32 v1, vcc, v1, v5, vcc
	v_lshlrev_b32_e32 v12, 2, v14
	v_add_co_u32_e32 v0, vcc, v2, v12
	v_addc_co_u32_e32 v1, vcc, 0, v1, vcc
	global_load_dword v10, v[0:1], off
	global_load_dword v11, v[0:1], off offset:128
	global_load_dword v6, v[0:1], off offset:256
	;; [unrolled: 1-line block ×3, first 2 shown]
	s_bitcmp1_b32 s0, 16
	s_cselect_b64 s[4:5], -1, 0
	s_and_b64 vcc, exec, s[4:5]
	s_cbranch_vccnz .LBB18_7
; %bb.2:
	s_waitcnt vmcnt(4)
	v_and_b32_e32 v0, 1, v8
	v_cmp_eq_u32_e32 vcc, 0, v0
	s_cbranch_vccz .LBB18_4
; %bb.3:
	v_mbcnt_lo_u32_b32 v1, -1, 0
	v_mbcnt_hi_u32_b32 v1, -1, v1
	v_and_b32_e32 v2, 0x60, v1
	v_add_u32_e32 v2, 32, v2
	v_xor_b32_e32 v3, 16, v1
	s_mov_b32 s0, 0xff800000
	v_cmp_lt_i32_e32 vcc, v3, v2
	s_waitcnt vmcnt(2)
	v_max3_f32 v0, v10, s0, v11
	v_cndmask_b32_e32 v3, v1, v3, vcc
	s_waitcnt vmcnt(0)
	v_max3_f32 v0, v0, v6, v7
	v_lshlrev_b32_e32 v9, 2, v3
	ds_bpermute_b32 v3, v9, v0
	s_mov_b32 s0, 0x3fb8aa3b
	s_mov_b32 s1, 0xc2ce8ed0
	;; [unrolled: 1-line block ×3, first 2 shown]
	s_waitcnt lgkmcnt(0)
	v_max_f32_e32 v3, v3, v3
	v_max_f32_e32 v0, v0, v3
	v_xor_b32_e32 v3, 8, v1
	v_cmp_lt_i32_e32 vcc, v3, v2
	v_cndmask_b32_e32 v3, v1, v3, vcc
	v_lshlrev_b32_e32 v15, 2, v3
	ds_bpermute_b32 v3, v15, v0
	s_waitcnt lgkmcnt(0)
	v_max_f32_e32 v3, v3, v3
	v_max_f32_e32 v0, v0, v3
	v_xor_b32_e32 v3, 4, v1
	v_cmp_lt_i32_e32 vcc, v3, v2
	v_cndmask_b32_e32 v3, v1, v3, vcc
	v_lshlrev_b32_e32 v18, 2, v3
	ds_bpermute_b32 v3, v18, v0
	;; [unrolled: 8-line block ×4, first 2 shown]
	s_waitcnt lgkmcnt(0)
	v_max_f32_e32 v1, v1, v1
	v_max_f32_e32 v0, v0, v1
	v_pk_add_f32 v[2:3], v[10:11], v[0:1] op_sel_hi:[1,0] neg_lo:[0,1] neg_hi:[0,1]
	v_mul_f32_e32 v1, 0x3fb8aa3b, v3
	v_fma_f32 v16, v3, s0, -v1
	v_rndne_f32_e32 v17, v1
	v_fmac_f32_e32 v16, 0x32a5705f, v3
	v_sub_f32_e32 v1, v1, v17
	v_add_f32_e32 v1, v1, v16
	v_exp_f32_e32 v1, v1
	v_cvt_i32_f32_e32 v16, v17
	v_cmp_ngt_f32_e32 vcc, s1, v3
	v_ldexp_f32 v1, v1, v16
	v_mul_f32_e32 v16, 0x3fb8aa3b, v2
	v_fma_f32 v17, v2, s0, -v16
	v_rndne_f32_e32 v21, v16
	v_fmac_f32_e32 v17, 0x32a5705f, v2
	v_sub_f32_e32 v16, v16, v21
	v_add_f32_e32 v16, v16, v17
	v_exp_f32_e32 v16, v16
	v_cvt_i32_f32_e32 v17, v21
	v_cndmask_b32_e32 v1, 0, v1, vcc
	v_mov_b32_e32 v21, 0x7f800000
	v_cmp_nlt_f32_e32 vcc, s2, v3
	v_cndmask_b32_e32 v1, v21, v1, vcc
	v_ldexp_f32 v3, v16, v17
	v_pk_add_f32 v[16:17], v[6:7], v[0:1] op_sel_hi:[1,0] neg_lo:[0,1] neg_hi:[0,1]
	v_mul_f32_e32 v0, 0x3fb8aa3b, v17
	v_fma_f32 v22, v17, s0, -v0
	v_rndne_f32_e32 v23, v0
	v_fmac_f32_e32 v22, 0x32a5705f, v17
	v_sub_f32_e32 v0, v0, v23
	v_add_f32_e32 v0, v0, v22
	v_exp_f32_e32 v22, v0
	v_cvt_i32_f32_e32 v23, v23
	v_cmp_ngt_f32_e32 vcc, s1, v2
	v_cndmask_b32_e32 v0, 0, v3, vcc
	v_mul_f32_e32 v3, 0x3fb8aa3b, v16
	v_cmp_nlt_f32_e32 vcc, s2, v2
	v_ldexp_f32 v2, v22, v23
	v_fma_f32 v22, v16, s0, -v3
	v_rndne_f32_e32 v23, v3
	v_fmac_f32_e32 v22, 0x32a5705f, v16
	v_sub_f32_e32 v3, v3, v23
	v_add_f32_e32 v3, v3, v22
	v_exp_f32_e32 v22, v3
	v_cvt_i32_f32_e32 v23, v23
	v_cndmask_b32_e32 v0, v21, v0, vcc
	v_cmp_ngt_f32_e32 vcc, s1, v17
	v_cndmask_b32_e32 v2, 0, v2, vcc
	v_cmp_nlt_f32_e32 vcc, s2, v17
	v_cndmask_b32_e32 v3, v21, v2, vcc
	v_ldexp_f32 v2, v22, v23
	v_cmp_ngt_f32_e32 vcc, s1, v16
	v_cndmask_b32_e32 v2, 0, v2, vcc
	v_cmp_nlt_f32_e32 vcc, s2, v16
	v_cndmask_b32_e32 v2, v21, v2, vcc
	v_add_f32_e32 v16, v0, v1
	v_add_f32_e32 v16, v2, v16
	;; [unrolled: 1-line block ×3, first 2 shown]
	ds_bpermute_b32 v9, v9, v16
	s_waitcnt lgkmcnt(0)
	v_add_f32_e32 v9, v16, v9
	ds_bpermute_b32 v15, v15, v9
	s_waitcnt lgkmcnt(0)
	v_add_f32_e32 v9, v9, v15
	;; [unrolled: 3-line block ×5, first 2 shown]
	v_div_scale_f32 v15, s[0:1], v9, v9, 1.0
	v_rcp_f32_e32 v16, v15
	v_fma_f32 v17, -v15, v16, 1.0
	v_fmac_f32_e32 v16, v17, v16
	v_div_scale_f32 v17, vcc, 1.0, v9, 1.0
	v_mul_f32_e32 v18, v17, v16
	v_fma_f32 v19, -v15, v18, v17
	v_fmac_f32_e32 v18, v19, v16
	v_fma_f32 v15, -v15, v18, v17
	v_div_fmas_f32 v15, v15, v16, v18
	v_div_fixup_f32 v16, v15, v9, 1.0
	v_pk_mul_f32 v[2:3], v[2:3], v[16:17] op_sel_hi:[1,0]
	v_pk_mul_f32 v[0:1], v[0:1], v[16:17] op_sel_hi:[1,0]
	s_cbranch_execz .LBB18_5
	s_branch .LBB18_6
.LBB18_4:
                                        ; implicit-def: $vgpr3
                                        ; implicit-def: $vgpr1
.LBB18_5:
	s_waitcnt vmcnt(2)
	v_mul_f32_e32 v0, 0xbfb8aa3b, v11
	s_mov_b32 s0, 0xbfb8aa3b
	v_rndne_f32_e32 v1, v0
	v_sub_f32_e32 v2, v0, v1
	v_fma_f32 v0, v11, s0, -v0
	v_fmac_f32_e32 v0, 0xb2a5705f, v11
	v_add_f32_e32 v0, v2, v0
	v_exp_f32_e32 v0, v0
	v_cvt_i32_f32_e32 v1, v1
	s_mov_b32 s1, 0x42ce8ed0
	v_cmp_nlt_f32_e32 vcc, s1, v11
	s_mov_b32 s2, 0xc2b17218
	v_ldexp_f32 v0, v0, v1
	v_mul_f32_e32 v1, 0xbfb8aa3b, v10
	v_rndne_f32_e32 v2, v1
	v_sub_f32_e32 v3, v1, v2
	v_fma_f32 v1, v10, s0, -v1
	v_fmac_f32_e32 v1, 0xb2a5705f, v10
	v_add_f32_e32 v1, v3, v1
	v_exp_f32_e32 v3, v1
	v_cvt_i32_f32_e32 v2, v2
	v_cndmask_b32_e32 v0, 0, v0, vcc
	v_mov_b32_e32 v9, 0x7f800000
	v_cmp_ngt_f32_e32 vcc, s2, v11
	v_cndmask_b32_e32 v1, v9, v0, vcc
	v_ldexp_f32 v0, v3, v2
	s_waitcnt vmcnt(0)
	v_mul_f32_e32 v2, 0xbfb8aa3b, v7
	v_rndne_f32_e32 v3, v2
	v_sub_f32_e32 v11, v2, v3
	v_fma_f32 v2, v7, s0, -v2
	v_fmac_f32_e32 v2, 0xb2a5705f, v7
	v_add_f32_e32 v2, v11, v2
	v_exp_f32_e32 v2, v2
	v_cvt_i32_f32_e32 v3, v3
	v_cmp_nlt_f32_e32 vcc, s1, v10
	v_cndmask_b32_e32 v0, 0, v0, vcc
	v_cmp_ngt_f32_e32 vcc, s2, v10
	v_ldexp_f32 v2, v2, v3
	v_mul_f32_e32 v3, 0xbfb8aa3b, v6
	v_rndne_f32_e32 v10, v3
	v_sub_f32_e32 v11, v3, v10
	v_fma_f32 v3, v6, s0, -v3
	v_fmac_f32_e32 v3, 0xb2a5705f, v6
	v_add_f32_e32 v3, v11, v3
	v_exp_f32_e32 v11, v3
	v_cvt_i32_f32_e32 v10, v10
	v_cndmask_b32_e32 v0, v9, v0, vcc
	v_cmp_nlt_f32_e32 vcc, s1, v7
	v_cndmask_b32_e32 v2, 0, v2, vcc
	v_cmp_ngt_f32_e32 vcc, s2, v7
	v_pk_add_f32 v[0:1], v[0:1], 1.0 op_sel_hi:[1,0]
	v_cndmask_b32_e32 v3, v9, v2, vcc
	v_cmp_nlt_f32_e32 vcc, s1, v6
	v_div_scale_f32 v7, s[0:1], v0, v0, 1.0
	v_ldexp_f32 v2, v11, v10
	v_rcp_f32_e32 v10, v7
	v_cndmask_b32_e32 v2, 0, v2, vcc
	v_cmp_ngt_f32_e32 vcc, s2, v6
	v_cndmask_b32_e32 v2, v9, v2, vcc
	v_fma_f32 v6, -v7, v10, 1.0
	v_fmac_f32_e32 v10, v6, v10
	v_div_scale_f32 v6, vcc, 1.0, v0, 1.0
	v_mul_f32_e32 v9, v6, v10
	v_fma_f32 v11, -v7, v9, v6
	v_fmac_f32_e32 v9, v11, v10
	v_fma_f32 v6, -v7, v9, v6
	v_div_scale_f32 v7, s[0:1], v1, v1, 1.0
	v_rcp_f32_e32 v11, v7
	v_div_fmas_f32 v6, v6, v10, v9
	v_div_fixup_f32 v0, v6, v0, 1.0
	v_pk_add_f32 v[2:3], v[2:3], 1.0 op_sel_hi:[1,0]
	v_fma_f32 v6, -v7, v11, 1.0
	v_fmac_f32_e32 v11, v6, v11
	v_div_scale_f32 v6, vcc, 1.0, v1, 1.0
	v_mul_f32_e32 v9, v6, v11
	v_fma_f32 v10, -v7, v9, v6
	v_fmac_f32_e32 v9, v10, v11
	v_fma_f32 v6, -v7, v9, v6
	v_div_scale_f32 v7, s[0:1], v2, v2, 1.0
	v_rcp_f32_e32 v10, v7
	v_div_fmas_f32 v6, v6, v11, v9
	v_div_fixup_f32 v1, v6, v1, 1.0
	v_fma_f32 v6, -v7, v10, 1.0
	v_fmac_f32_e32 v10, v6, v10
	v_div_scale_f32 v6, vcc, 1.0, v2, 1.0
	v_mul_f32_e32 v9, v6, v10
	v_fma_f32 v11, -v7, v9, v6
	v_fmac_f32_e32 v9, v11, v10
	v_fma_f32 v6, -v7, v9, v6
	v_div_scale_f32 v7, s[0:1], v3, v3, 1.0
	v_rcp_f32_e32 v11, v7
	v_div_fmas_f32 v6, v6, v10, v9
	v_div_fixup_f32 v2, v6, v2, 1.0
	v_fma_f32 v6, -v7, v11, 1.0
	v_fmac_f32_e32 v11, v6, v11
	v_div_scale_f32 v6, vcc, 1.0, v3, 1.0
	v_mul_f32_e32 v9, v6, v11
	v_fma_f32 v10, -v7, v9, v6
	v_fmac_f32_e32 v9, v10, v11
	v_fma_f32 v6, -v7, v9, v6
	v_div_fmas_f32 v6, v6, v11, v9
	v_div_fixup_f32 v3, v6, v3, 1.0
.LBB18_6:
	s_waitcnt vmcnt(3)
	v_mov_b32_e32 v10, v0
	s_waitcnt vmcnt(2)
	v_mov_b32_e32 v11, v1
	;; [unrolled: 2-line block ×4, first 2 shown]
.LBB18_7:
	s_waitcnt vmcnt(4)
	v_lshrrev_b16_e32 v0, 8, v8
	s_cmp_gt_i32 s9, 0
	v_readfirstlane_b32 s18, v0
	s_cbranch_scc1 .LBB18_9
; %bb.8:
	s_mov_b32 s0, 0
	s_bitcmp1_b32 s18, 0
	s_mov_b32 s1, s0
	s_mov_b32 s2, s0
	;; [unrolled: 1-line block ×3, first 2 shown]
	s_mov_b64 s[16:17], 0
	s_cselect_b64 s[12:13], -1, 0
	s_branch .LBB18_10
.LBB18_9:
	s_mov_b64 s[16:17], -1
                                        ; implicit-def: $sgpr0
                                        ; implicit-def: $sgpr12_sgpr13
.LBB18_10:
	v_pk_mov_b32 v[0:1], s[0:1], s[0:1] op_sel:[0,1]
	v_add_u32_e32 v17, 32, v14
	v_add_u32_e32 v16, 64, v14
	;; [unrolled: 1-line block ×3, first 2 shown]
	s_andn2_b64 vcc, exec, s[16:17]
	v_mov_b32_e32 v19, s0
	v_pk_mov_b32 v[2:3], s[2:3], s[2:3] op_sel:[0,1]
	v_mbcnt_lo_u32_b32 v18, -1, 0
	s_cbranch_vccnz .LBB18_37
; %bb.11:
	v_mov_b32_e32 v0, s7
	v_add_co_u32_e32 v8, vcc, s6, v4
	v_addc_co_u32_e32 v9, vcc, v0, v5, vcc
	v_mov_b32_e32 v0, 0xff7fffff
	s_waitcnt vmcnt(3)
	v_cmp_o_f32_e32 vcc, v10, v10
	v_cndmask_b32_e32 v4, v0, v10, vcc
	s_waitcnt vmcnt(2)
	v_cmp_o_f32_e32 vcc, v11, v11
	v_cndmask_b32_e32 v5, v0, v11, vcc
	;; [unrolled: 3-line block ×4, first 2 shown]
	v_mbcnt_hi_u32_b32 v0, -1, v18
	v_and_b32_e32 v1, 0x60, v0
	v_add_u32_e32 v1, 32, v1
	v_xor_b32_e32 v2, 16, v0
	v_cmp_lt_i32_e32 vcc, v2, v1
	v_cndmask_b32_e32 v2, v0, v2, vcc
	v_lshlrev_b32_e32 v10, 2, v2
	v_xor_b32_e32 v2, 8, v0
	v_cmp_lt_i32_e32 vcc, v2, v1
	v_cndmask_b32_e32 v2, v0, v2, vcc
	v_lshlrev_b32_e32 v11, 2, v2
	v_xor_b32_e32 v2, 4, v0
	v_cmp_lt_i32_e32 vcc, v2, v1
	v_cndmask_b32_e32 v2, v0, v2, vcc
	v_lshlrev_b32_e32 v20, 2, v2
	v_xor_b32_e32 v2, 2, v0
	v_cmp_lt_i32_e32 vcc, v2, v1
	v_cndmask_b32_e32 v2, v0, v2, vcc
	v_lshlrev_b32_e32 v21, 2, v2
	v_xor_b32_e32 v2, 1, v0
	v_cmp_lt_i32_e32 vcc, v2, v1
	s_bitcmp1_b32 s18, 0
	v_cndmask_b32_e32 v0, v0, v2, vcc
	s_mov_b32 s8, 0
	s_cselect_b64 s[12:13], -1, 0
	v_lshlrev_b32_e32 v22, 2, v0
	v_mov_b32_e32 v19, 0
	v_mov_b32_e32 v23, 0xff800000
	;; [unrolled: 1-line block ×6, first 2 shown]
	s_branch .LBB18_13
.LBB18_12:                              ;   in Loop: Header=BB18_13 Depth=1
	s_or_b64 exec, exec, s[0:1]
	s_and_b32 s0, s8, 31
	s_lshr_b32 s1, s8, 5
	s_cmp_eq_u32 s1, 0
	s_cselect_b64 vcc, -1, 0
	s_cmp_eq_u32 s1, 1
	v_cndmask_b32_e32 v25, v0, v24, vcc
	s_cselect_b64 vcc, -1, 0
	s_cmp_eq_u32 s1, 2
	v_cndmask_b32_e32 v26, v1, v24, vcc
	s_cselect_b64 vcc, -1, 0
	s_cmp_eq_u32 s1, 3
	s_waitcnt lgkmcnt(0)
	v_cndmask_b32_e32 v27, v2, v24, vcc
	s_cselect_b64 vcc, -1, 0
	v_cndmask_b32_e32 v24, v3, v24, vcc
	v_cmp_eq_u32_e32 vcc, s0, v14
	v_cndmask_b32_e32 v3, v3, v24, vcc
	v_cndmask_b32_e32 v2, v2, v27, vcc
	v_cndmask_b32_e32 v1, v1, v26, vcc
	v_cndmask_b32_e32 v0, v0, v25, vcc
	s_add_i32 s8, s8, 1
	v_add_co_u32_e32 v8, vcc, 4, v8
	s_cmp_eq_u32 s9, s8
	v_addc_co_u32_e32 v9, vcc, 0, v9, vcc
	s_cbranch_scc1 .LBB18_37
.LBB18_13:                              ; =>This Inner Loop Header: Depth=1
	v_cmp_gt_f32_e32 vcc, v5, v4
	v_cndmask_b32_e32 v24, v4, v5, vcc
	v_cndmask_b32_e32 v25, v14, v17, vcc
	v_cmp_gt_f32_e32 vcc, v6, v24
	v_cndmask_b32_e32 v24, v24, v6, vcc
	v_cndmask_b32_e32 v25, v25, v16, vcc
	v_cmp_gt_f32_e32 vcc, v7, v24
	v_cndmask_b32_e32 v24, v24, v7, vcc
	ds_bpermute_b32 v26, v10, v24
	v_cndmask_b32_e32 v25, v25, v15, vcc
	ds_bpermute_b32 v27, v10, v25
	s_waitcnt lgkmcnt(1)
	v_cmp_lt_f32_e64 s[2:3], v24, v26
	v_cmp_nlt_f32_e32 vcc, v24, v26
	s_and_saveexec_b64 s[6:7], vcc
	s_cbranch_execz .LBB18_15
; %bb.14:                               ;   in Loop: Header=BB18_13 Depth=1
	v_cmp_eq_f32_e32 vcc, v24, v26
	s_waitcnt lgkmcnt(0)
	v_cmp_lt_i32_e64 s[0:1], v27, v25
	s_and_b64 s[0:1], vcc, s[0:1]
	s_andn2_b64 s[2:3], s[2:3], exec
	s_and_b64 s[0:1], s[0:1], exec
	s_or_b64 s[2:3], s[2:3], s[0:1]
.LBB18_15:                              ;   in Loop: Header=BB18_13 Depth=1
	s_or_b64 exec, exec, s[6:7]
	s_and_saveexec_b64 s[0:1], s[2:3]
	s_cbranch_execz .LBB18_17
; %bb.16:                               ;   in Loop: Header=BB18_13 Depth=1
	v_mov_b32_e32 v24, v26
	s_waitcnt lgkmcnt(0)
	v_mov_b32_e32 v25, v27
.LBB18_17:                              ;   in Loop: Header=BB18_13 Depth=1
	s_or_b64 exec, exec, s[0:1]
	s_waitcnt lgkmcnt(0)
	ds_bpermute_b32 v27, v11, v24
	ds_bpermute_b32 v26, v11, v25
	s_waitcnt lgkmcnt(1)
	v_cmp_lt_f32_e64 s[2:3], v24, v27
	v_cmp_nlt_f32_e32 vcc, v24, v27
	s_and_saveexec_b64 s[6:7], vcc
	s_cbranch_execz .LBB18_19
; %bb.18:                               ;   in Loop: Header=BB18_13 Depth=1
	v_cmp_eq_f32_e32 vcc, v24, v27
	s_waitcnt lgkmcnt(0)
	v_cmp_lt_i32_e64 s[0:1], v26, v25
	s_and_b64 s[0:1], vcc, s[0:1]
	s_andn2_b64 s[2:3], s[2:3], exec
	s_and_b64 s[0:1], s[0:1], exec
	s_or_b64 s[2:3], s[2:3], s[0:1]
.LBB18_19:                              ;   in Loop: Header=BB18_13 Depth=1
	s_or_b64 exec, exec, s[6:7]
	s_and_saveexec_b64 s[0:1], s[2:3]
	s_cbranch_execz .LBB18_21
; %bb.20:                               ;   in Loop: Header=BB18_13 Depth=1
	v_mov_b32_e32 v24, v27
	s_waitcnt lgkmcnt(0)
	v_mov_b32_e32 v25, v26
.LBB18_21:                              ;   in Loop: Header=BB18_13 Depth=1
	s_or_b64 exec, exec, s[0:1]
	ds_bpermute_b32 v27, v20, v24
	s_waitcnt lgkmcnt(1)
	ds_bpermute_b32 v26, v20, v25
	s_waitcnt lgkmcnt(1)
	v_cmp_lt_f32_e64 s[2:3], v24, v27
	v_cmp_nlt_f32_e32 vcc, v24, v27
	s_and_saveexec_b64 s[6:7], vcc
	s_cbranch_execz .LBB18_23
; %bb.22:                               ;   in Loop: Header=BB18_13 Depth=1
	v_cmp_eq_f32_e32 vcc, v24, v27
	s_waitcnt lgkmcnt(0)
	v_cmp_lt_i32_e64 s[0:1], v26, v25
	s_and_b64 s[0:1], vcc, s[0:1]
	s_andn2_b64 s[2:3], s[2:3], exec
	s_and_b64 s[0:1], s[0:1], exec
	s_or_b64 s[2:3], s[2:3], s[0:1]
.LBB18_23:                              ;   in Loop: Header=BB18_13 Depth=1
	s_or_b64 exec, exec, s[6:7]
	s_and_saveexec_b64 s[0:1], s[2:3]
	s_cbranch_execz .LBB18_25
; %bb.24:                               ;   in Loop: Header=BB18_13 Depth=1
	v_mov_b32_e32 v24, v27
	s_waitcnt lgkmcnt(0)
	v_mov_b32_e32 v25, v26
.LBB18_25:                              ;   in Loop: Header=BB18_13 Depth=1
	s_or_b64 exec, exec, s[0:1]
	ds_bpermute_b32 v27, v21, v24
	s_waitcnt lgkmcnt(1)
	ds_bpermute_b32 v26, v21, v25
	s_waitcnt lgkmcnt(1)
	v_cmp_lt_f32_e64 s[2:3], v24, v27
	v_cmp_nlt_f32_e32 vcc, v24, v27
	s_and_saveexec_b64 s[6:7], vcc
	s_cbranch_execz .LBB18_27
; %bb.26:                               ;   in Loop: Header=BB18_13 Depth=1
	v_cmp_eq_f32_e32 vcc, v24, v27
	s_waitcnt lgkmcnt(0)
	v_cmp_lt_i32_e64 s[0:1], v26, v25
	s_and_b64 s[0:1], vcc, s[0:1]
	s_andn2_b64 s[2:3], s[2:3], exec
	s_and_b64 s[0:1], s[0:1], exec
	s_or_b64 s[2:3], s[2:3], s[0:1]
.LBB18_27:                              ;   in Loop: Header=BB18_13 Depth=1
	s_or_b64 exec, exec, s[6:7]
	s_and_saveexec_b64 s[0:1], s[2:3]
	s_cbranch_execz .LBB18_29
; %bb.28:                               ;   in Loop: Header=BB18_13 Depth=1
	v_mov_b32_e32 v24, v27
	s_waitcnt lgkmcnt(0)
	v_mov_b32_e32 v25, v26
.LBB18_29:                              ;   in Loop: Header=BB18_13 Depth=1
	s_or_b64 exec, exec, s[0:1]
	s_waitcnt lgkmcnt(0)
	ds_bpermute_b32 v26, v22, v24
	ds_bpermute_b32 v27, v22, v25
	s_waitcnt lgkmcnt(1)
	v_cmp_lt_f32_e64 s[2:3], v24, v26
	v_cmp_nlt_f32_e32 vcc, v24, v26
	s_and_saveexec_b64 s[6:7], vcc
	s_cbranch_execz .LBB18_31
; %bb.30:                               ;   in Loop: Header=BB18_13 Depth=1
	v_cmp_eq_f32_e32 vcc, v24, v26
	s_waitcnt lgkmcnt(0)
	v_cmp_lt_i32_e64 s[0:1], v27, v25
	s_and_b64 s[0:1], vcc, s[0:1]
	s_andn2_b64 s[2:3], s[2:3], exec
	s_and_b64 s[0:1], s[0:1], exec
	s_or_b64 s[2:3], s[2:3], s[0:1]
.LBB18_31:                              ;   in Loop: Header=BB18_13 Depth=1
	s_or_b64 exec, exec, s[6:7]
	s_and_saveexec_b64 s[0:1], s[2:3]
	s_cbranch_execz .LBB18_33
; %bb.32:                               ;   in Loop: Header=BB18_13 Depth=1
	v_mov_b32_e32 v24, v26
	s_waitcnt lgkmcnt(0)
	v_mov_b32_e32 v25, v27
.LBB18_33:                              ;   in Loop: Header=BB18_13 Depth=1
	s_or_b64 exec, exec, s[0:1]
	v_and_b32_e32 v26, 31, v25
	v_cmp_eq_u32_e32 vcc, v26, v14
	s_and_saveexec_b64 s[2:3], vcc
	s_cbranch_execz .LBB18_35
; %bb.34:                               ;   in Loop: Header=BB18_13 Depth=1
	v_ashrrev_i32_e32 v26, 31, v25
	v_lshrrev_b32_e32 v26, 27, v26
	v_add_u32_e32 v26, v25, v26
	v_ashrrev_i32_e32 v26, 5, v26
	v_cmp_ne_u32_e64 s[0:1], 3, v26
	v_cndmask_b32_e64 v7, v23, v7, s[0:1]
	v_cmp_ne_u32_e64 s[0:1], 2, v26
	v_cndmask_b32_e64 v6, v23, v6, s[0:1]
	;; [unrolled: 2-line block ×4, first 2 shown]
.LBB18_35:                              ;   in Loop: Header=BB18_13 Depth=1
	s_or_b64 exec, exec, s[2:3]
	s_and_saveexec_b64 s[0:1], vcc
	s_cbranch_execz .LBB18_12
; %bb.36:                               ;   in Loop: Header=BB18_13 Depth=1
	v_add_f32_e32 v26, v19, v24
	v_cndmask_b32_e64 v19, v19, v26, s[12:13]
	global_store_dword v[8:9], v25, off
	s_branch .LBB18_12
.LBB18_37:
	s_and_b64 vcc, exec, s[12:13]
	s_cbranch_vccz .LBB18_39
; %bb.38:
	v_mbcnt_hi_u32_b32 v4, -1, v18
	v_and_b32_e32 v5, 0x60, v4
	v_add_u32_e32 v5, 32, v5
	s_waitcnt vmcnt(1)
	v_xor_b32_e32 v6, 16, v4
	v_cmp_lt_i32_e32 vcc, v6, v5
	v_cndmask_b32_e32 v6, v4, v6, vcc
	v_lshlrev_b32_e32 v6, 2, v6
	ds_bpermute_b32 v6, v6, v19
	s_waitcnt vmcnt(0)
	v_xor_b32_e32 v7, 8, v4
	v_cmp_lt_i32_e32 vcc, v7, v5
	v_cndmask_b32_e32 v7, v4, v7, vcc
	v_lshlrev_b32_e32 v7, 2, v7
	s_waitcnt lgkmcnt(0)
	v_add_f32_e32 v6, v19, v6
	ds_bpermute_b32 v7, v7, v6
	v_xor_b32_e32 v8, 4, v4
	v_cmp_lt_i32_e32 vcc, v8, v5
	s_waitcnt lgkmcnt(0)
	v_add_f32_e32 v6, v6, v7
	v_cndmask_b32_e32 v7, v4, v8, vcc
	v_lshlrev_b32_e32 v7, 2, v7
	ds_bpermute_b32 v7, v7, v6
	v_xor_b32_e32 v8, 2, v4
	v_cmp_lt_i32_e32 vcc, v8, v5
	s_waitcnt lgkmcnt(0)
	v_add_f32_e32 v6, v6, v7
	v_cndmask_b32_e32 v7, v4, v8, vcc
	v_lshlrev_b32_e32 v7, 2, v7
	ds_bpermute_b32 v7, v7, v6
	v_xor_b32_e32 v8, 1, v4
	v_cmp_lt_i32_e32 vcc, v8, v5
	v_cndmask_b32_e32 v4, v4, v8, vcc
	v_lshlrev_b32_e32 v4, 2, v4
	s_waitcnt lgkmcnt(0)
	v_add_f32_e32 v6, v6, v7
	ds_bpermute_b32 v4, v4, v6
	v_max_f32_e64 v5, s10, s10
	s_waitcnt lgkmcnt(0)
	v_add_f32_e32 v4, v6, v4
	v_max_f32_e32 v4, v4, v5
	v_div_scale_f32 v5, s[0:1], v4, v4, 1.0
	v_rcp_f32_e32 v6, v5
	v_div_scale_f32 v7, vcc, 1.0, v4, 1.0
	v_fma_f32 v8, -v5, v6, 1.0
	v_fmac_f32_e32 v6, v8, v6
	v_mul_f32_e32 v8, v7, v6
	v_fma_f32 v9, -v5, v8, v7
	v_fmac_f32_e32 v8, v9, v6
	v_fma_f32 v5, -v5, v8, v7
	v_div_fmas_f32 v5, v5, v6, v8
	v_div_fixup_f32 v4, v5, v4, 1.0
	v_pk_mul_f32 v[2:3], v[4:5], v[2:3] op_sel_hi:[0,1]
	v_pk_mul_f32 v[0:1], v[4:5], v[0:1] op_sel_hi:[0,1]
.LBB18_39:
	s_andn2_b64 vcc, exec, s[4:5]
	v_cmp_gt_i32_e64 s[4:5], s9, v17
	v_cmp_gt_i32_e64 s[2:3], s9, v16
	;; [unrolled: 1-line block ×4, first 2 shown]
	s_cbranch_vccnz .LBB18_41
; %bb.40:
	v_max_f32_e32 v4, v0, v0
	v_max_f32_e32 v4, 0xff800000, v4
	v_mov_b32_e32 v5, 0xff800000
	v_cndmask_b32_e64 v4, v5, v4, s[6:7]
	v_max_f32_e32 v5, v1, v1
	v_max_f32_e32 v5, v4, v5
	v_cndmask_b32_e64 v4, v4, v5, s[4:5]
	v_max_f32_e32 v5, v2, v2
	v_max_f32_e32 v5, v4, v5
	;; [unrolled: 3-line block ×3, first 2 shown]
	v_cndmask_b32_e64 v4, v4, v5, s[0:1]
	v_mbcnt_hi_u32_b32 v5, -1, v18
	s_waitcnt vmcnt(1)
	v_and_b32_e32 v6, 0x60, v5
	v_add_u32_e32 v6, 32, v6
	s_waitcnt vmcnt(0)
	v_xor_b32_e32 v7, 16, v5
	v_cmp_lt_i32_e32 vcc, v7, v6
	v_cndmask_b32_e32 v7, v5, v7, vcc
	v_lshlrev_b32_e32 v7, 2, v7
	ds_bpermute_b32 v8, v7, v4
	s_mov_b32 s8, 0x3fb8aa3b
	s_mov_b32 s10, 0xc2ce8ed0
	;; [unrolled: 1-line block ×3, first 2 shown]
	v_cndmask_b32_e64 v3, v3, v3, s[4:5]
	s_waitcnt lgkmcnt(0)
	v_max_f32_e32 v8, v8, v8
	v_max_f32_e32 v4, v4, v8
	v_xor_b32_e32 v8, 8, v5
	v_cmp_lt_i32_e32 vcc, v8, v6
	v_cndmask_b32_e32 v8, v5, v8, vcc
	v_lshlrev_b32_e32 v8, 2, v8
	ds_bpermute_b32 v9, v8, v4
	s_waitcnt lgkmcnt(0)
	v_max_f32_e32 v9, v9, v9
	v_max_f32_e32 v4, v4, v9
	v_xor_b32_e32 v9, 4, v5
	v_cmp_lt_i32_e32 vcc, v9, v6
	v_cndmask_b32_e32 v9, v5, v9, vcc
	v_lshlrev_b32_e32 v9, 2, v9
	ds_bpermute_b32 v10, v9, v4
	;; [unrolled: 8-line block ×4, first 2 shown]
	s_waitcnt lgkmcnt(0)
	v_max_f32_e32 v6, v6, v6
	v_max_f32_e32 v4, v4, v6
	v_sub_f32_e32 v0, v0, v4
	v_mul_f32_e32 v6, 0x3fb8aa3b, v0
	v_fma_f32 v11, v0, s8, -v6
	v_rndne_f32_e32 v18, v6
	v_fmac_f32_e32 v11, 0x32a5705f, v0
	v_sub_f32_e32 v6, v6, v18
	v_sub_f32_e32 v1, v1, v4
	v_add_f32_e32 v6, v6, v11
	v_cvt_i32_f32_e32 v11, v18
	v_mul_f32_e32 v18, 0x3fb8aa3b, v1
	v_fma_f32 v19, v1, s8, -v18
	v_rndne_f32_e32 v20, v18
	v_exp_f32_e32 v6, v6
	v_fmac_f32_e32 v19, 0x32a5705f, v1
	v_sub_f32_e32 v18, v18, v20
	v_add_f32_e32 v18, v18, v19
	v_exp_f32_e32 v18, v18
	v_cvt_i32_f32_e32 v19, v20
	v_ldexp_f32 v6, v6, v11
	v_cmp_ngt_f32_e32 vcc, s10, v0
	v_cndmask_b32_e32 v6, 0, v6, vcc
	v_mov_b32_e32 v11, 0x7f800000
	v_cmp_nlt_f32_e32 vcc, s12, v0
	v_cndmask_b32_e32 v0, v11, v6, vcc
	v_ldexp_f32 v6, v18, v19
	v_cmp_ngt_f32_e32 vcc, s10, v1
	v_cndmask_b32_e32 v6, 0, v6, vcc
	v_cmp_nlt_f32_e32 vcc, s12, v1
	v_cndmask_b32_e64 v1, v2, v2, s[4:5]
	v_sub_f32_e32 v1, v1, v4
	v_mul_f32_e32 v2, 0x3fb8aa3b, v1
	v_fma_f32 v18, v1, s8, -v2
	v_rndne_f32_e32 v19, v2
	v_fmac_f32_e32 v18, 0x32a5705f, v1
	v_sub_f32_e32 v2, v2, v19
	v_add_f32_e32 v2, v2, v18
	v_exp_f32_e32 v2, v2
	v_cvt_i32_f32_e32 v18, v19
	v_sub_f32_e32 v3, v3, v4
	v_mul_f32_e32 v4, 0x3fb8aa3b, v3
	v_rndne_f32_e32 v20, v4
	v_ldexp_f32 v2, v2, v18
	v_fma_f32 v18, v3, s8, -v4
	v_fmac_f32_e32 v18, 0x32a5705f, v3
	v_sub_f32_e32 v4, v4, v20
	v_add_f32_e32 v4, v4, v18
	v_exp_f32_e32 v4, v4
	v_cvt_i32_f32_e32 v18, v20
	v_cndmask_b32_e64 v0, 0, v0, s[6:7]
	v_cndmask_b32_e32 v6, v11, v6, vcc
	v_cmp_ngt_f32_e32 vcc, s10, v1
	v_add_f32_e32 v19, v6, v0
	v_cndmask_b32_e32 v2, 0, v2, vcc
	v_cmp_nlt_f32_e32 vcc, s12, v1
	v_cndmask_b32_e64 v19, v0, v19, s[4:5]
	v_cndmask_b32_e32 v20, v11, v2, vcc
	v_ldexp_f32 v2, v4, v18
	v_cmp_ngt_f32_e32 vcc, s10, v3
	v_add_f32_e32 v1, v19, v20
	v_cndmask_b32_e32 v2, 0, v2, vcc
	v_cmp_nlt_f32_e32 vcc, s12, v3
	v_cndmask_b32_e64 v1, v19, v1, s[2:3]
	v_cndmask_b32_e32 v4, v11, v2, vcc
	v_add_f32_e32 v2, v1, v4
	v_cndmask_b32_e64 v1, v1, v2, s[0:1]
	ds_bpermute_b32 v2, v7, v1
	s_mov_b32 s8, 0
	v_cndmask_b32_e64 v7, 0, v20, s[2:3]
	s_waitcnt lgkmcnt(0)
	v_add_f32_e32 v1, v1, v2
	ds_bpermute_b32 v2, v8, v1
	s_waitcnt lgkmcnt(0)
	v_add_f32_e32 v1, v1, v2
	ds_bpermute_b32 v2, v9, v1
	;; [unrolled: 3-line block ×3, first 2 shown]
	v_mov_b32_e32 v1, s8
	v_cndmask_b32_e64 v1, v1, v6, s[4:5]
	v_cndmask_b32_e64 v6, 0, v6, s[4:5]
	s_waitcnt lgkmcnt(0)
	v_add_f32_e32 v3, v2, v3
	ds_bpermute_b32 v5, v5, v3
	v_mov_b32_e32 v2, s8
	v_cndmask_b32_e64 v2, v2, v20, s[2:3]
	s_waitcnt lgkmcnt(0)
	v_add_f32_e32 v5, v3, v5
	v_div_scale_f32 v8, s[12:13], v5, v5, 1.0
	v_rcp_f32_e32 v9, v8
	v_mov_b32_e32 v3, s8
	v_cndmask_b32_e64 v3, v3, v4, s[0:1]
	v_cndmask_b32_e64 v4, 0, v4, s[0:1]
	v_fma_f32 v10, -v8, v9, 1.0
	v_fmac_f32_e32 v9, v10, v9
	v_div_scale_f32 v10, vcc, 1.0, v5, 1.0
	v_mul_f32_e32 v11, v10, v9
	v_fma_f32 v18, -v8, v11, v10
	v_fmac_f32_e32 v11, v18, v9
	v_fma_f32 v8, -v8, v11, v10
	v_div_fmas_f32 v8, v8, v9, v11
	v_div_fixup_f32 v5, v8, v5, 1.0
	v_mul_f32_e32 v6, v6, v5
	v_mul_f32_e32 v8, v0, v5
	v_cndmask_b32_e64 v1, v1, v6, s[4:5]
	v_mul_f32_e32 v6, v7, v5
	v_mul_f32_e32 v4, v4, v5
	v_cndmask_b32_e64 v0, v0, v8, s[6:7]
	v_cndmask_b32_e64 v2, v2, v6, s[2:3]
	;; [unrolled: 1-line block ×3, first 2 shown]
.LBB18_41:
	v_mul_lo_u32 v4, v13, s9
	v_ashrrev_i32_e32 v5, 31, v4
	v_lshlrev_b64 v[4:5], 2, v[4:5]
	s_waitcnt vmcnt(1)
	v_mov_b32_e32 v6, s15
	v_add_co_u32_e32 v4, vcc, s14, v4
	v_addc_co_u32_e32 v5, vcc, v6, v5, vcc
	v_cmp_gt_i32_e32 vcc, s9, v14
	s_and_saveexec_b64 s[0:1], vcc
	s_cbranch_execnz .LBB18_47
; %bb.42:
	s_or_b64 exec, exec, s[0:1]
	v_cmp_gt_i32_e32 vcc, s9, v17
	s_and_saveexec_b64 s[0:1], vcc
	s_cbranch_execnz .LBB18_48
.LBB18_43:
	s_or_b64 exec, exec, s[0:1]
	v_cmp_gt_i32_e32 vcc, s9, v16
	s_and_saveexec_b64 s[0:1], vcc
	s_cbranch_execnz .LBB18_49
.LBB18_44:
	s_or_b64 exec, exec, s[0:1]
	v_cmp_gt_i32_e32 vcc, s9, v15
	s_and_b64 exec, exec, vcc
	s_cbranch_execz .LBB18_46
.LBB18_45:
	v_add_co_u32_e32 v0, vcc, v4, v12
	v_addc_co_u32_e32 v1, vcc, 0, v5, vcc
	v_mul_f32_e32 v2, s11, v3
	global_store_dword v[0:1], v2, off offset:384
.LBB18_46:
	s_endpgm
.LBB18_47:
	v_add_co_u32_e32 v6, vcc, v4, v12
	s_waitcnt vmcnt(0)
	v_addc_co_u32_e32 v7, vcc, 0, v5, vcc
	v_mul_f32_e32 v0, s11, v0
	global_store_dword v[6:7], v0, off
	s_or_b64 exec, exec, s[0:1]
	v_cmp_gt_i32_e32 vcc, s9, v17
	s_and_saveexec_b64 s[0:1], vcc
	s_cbranch_execz .LBB18_43
.LBB18_48:
	v_add_co_u32_e32 v6, vcc, v4, v12
	s_waitcnt vmcnt(0)
	v_addc_co_u32_e32 v7, vcc, 0, v5, vcc
	v_mul_f32_e32 v0, s11, v1
	global_store_dword v[6:7], v0, off offset:128
	s_or_b64 exec, exec, s[0:1]
	v_cmp_gt_i32_e32 vcc, s9, v16
	s_and_saveexec_b64 s[0:1], vcc
	s_cbranch_execz .LBB18_44
.LBB18_49:
	v_add_co_u32_e32 v0, vcc, v4, v12
	v_addc_co_u32_e32 v1, vcc, 0, v5, vcc
	v_mul_f32_e32 v2, s11, v2
	global_store_dword v[0:1], v2, off offset:256
	s_or_b64 exec, exec, s[0:1]
	v_cmp_gt_i32_e32 vcc, s9, v15
	s_and_b64 exec, exec, vcc
	s_cbranch_execnz .LBB18_45
	s_branch .LBB18_46
	.section	.rodata,"a",@progbits
	.p2align	6, 0x0
	.amdhsa_kernel _Z13topk_moe_cudaILi128ELb0EEvPKfPfPiS2_iiff15topk_moe_config
		.amdhsa_group_segment_fixed_size 0
		.amdhsa_private_segment_fixed_size 0
		.amdhsa_kernarg_size 312
		.amdhsa_user_sgpr_count 6
		.amdhsa_user_sgpr_private_segment_buffer 1
		.amdhsa_user_sgpr_dispatch_ptr 0
		.amdhsa_user_sgpr_queue_ptr 0
		.amdhsa_user_sgpr_kernarg_segment_ptr 1
		.amdhsa_user_sgpr_dispatch_id 0
		.amdhsa_user_sgpr_flat_scratch_init 0
		.amdhsa_user_sgpr_kernarg_preload_length 0
		.amdhsa_user_sgpr_kernarg_preload_offset 0
		.amdhsa_user_sgpr_private_segment_size 0
		.amdhsa_uses_dynamic_stack 0
		.amdhsa_system_sgpr_private_segment_wavefront_offset 0
		.amdhsa_system_sgpr_workgroup_id_x 1
		.amdhsa_system_sgpr_workgroup_id_y 0
		.amdhsa_system_sgpr_workgroup_id_z 0
		.amdhsa_system_sgpr_workgroup_info 0
		.amdhsa_system_vgpr_workitem_id 1
		.amdhsa_next_free_vgpr 28
		.amdhsa_next_free_sgpr 19
		.amdhsa_accum_offset 28
		.amdhsa_reserve_vcc 1
		.amdhsa_reserve_flat_scratch 0
		.amdhsa_float_round_mode_32 0
		.amdhsa_float_round_mode_16_64 0
		.amdhsa_float_denorm_mode_32 3
		.amdhsa_float_denorm_mode_16_64 3
		.amdhsa_dx10_clamp 1
		.amdhsa_ieee_mode 1
		.amdhsa_fp16_overflow 0
		.amdhsa_tg_split 0
		.amdhsa_exception_fp_ieee_invalid_op 0
		.amdhsa_exception_fp_denorm_src 0
		.amdhsa_exception_fp_ieee_div_zero 0
		.amdhsa_exception_fp_ieee_overflow 0
		.amdhsa_exception_fp_ieee_underflow 0
		.amdhsa_exception_fp_ieee_inexact 0
		.amdhsa_exception_int_div_zero 0
	.end_amdhsa_kernel
	.section	.text._Z13topk_moe_cudaILi128ELb0EEvPKfPfPiS2_iiff15topk_moe_config,"axG",@progbits,_Z13topk_moe_cudaILi128ELb0EEvPKfPfPiS2_iiff15topk_moe_config,comdat
.Lfunc_end18:
	.size	_Z13topk_moe_cudaILi128ELb0EEvPKfPfPiS2_iiff15topk_moe_config, .Lfunc_end18-_Z13topk_moe_cudaILi128ELb0EEvPKfPfPiS2_iiff15topk_moe_config
                                        ; -- End function
	.section	.AMDGPU.csdata,"",@progbits
; Kernel info:
; codeLenInByte = 4212
; NumSgprs: 23
; NumVgprs: 28
; NumAgprs: 0
; TotalNumVgprs: 28
; ScratchSize: 0
; MemoryBound: 0
; FloatMode: 240
; IeeeMode: 1
; LDSByteSize: 0 bytes/workgroup (compile time only)
; SGPRBlocks: 2
; VGPRBlocks: 3
; NumSGPRsForWavesPerEU: 23
; NumVGPRsForWavesPerEU: 28
; AccumOffset: 28
; Occupancy: 8
; WaveLimiterHint : 1
; COMPUTE_PGM_RSRC2:SCRATCH_EN: 0
; COMPUTE_PGM_RSRC2:USER_SGPR: 6
; COMPUTE_PGM_RSRC2:TRAP_HANDLER: 0
; COMPUTE_PGM_RSRC2:TGID_X_EN: 1
; COMPUTE_PGM_RSRC2:TGID_Y_EN: 0
; COMPUTE_PGM_RSRC2:TGID_Z_EN: 0
; COMPUTE_PGM_RSRC2:TIDIG_COMP_CNT: 1
; COMPUTE_PGM_RSRC3_GFX90A:ACCUM_OFFSET: 6
; COMPUTE_PGM_RSRC3_GFX90A:TG_SPLIT: 0
	.section	.text._Z13topk_moe_cudaILi256ELb0EEvPKfPfPiS2_iiff15topk_moe_config,"axG",@progbits,_Z13topk_moe_cudaILi256ELb0EEvPKfPfPiS2_iiff15topk_moe_config,comdat
	.protected	_Z13topk_moe_cudaILi256ELb0EEvPKfPfPiS2_iiff15topk_moe_config ; -- Begin function _Z13topk_moe_cudaILi256ELb0EEvPKfPfPiS2_iiff15topk_moe_config
	.globl	_Z13topk_moe_cudaILi256ELb0EEvPKfPfPiS2_iiff15topk_moe_config
	.p2align	8
	.type	_Z13topk_moe_cudaILi256ELb0EEvPKfPfPiS2_iiff15topk_moe_config,@function
_Z13topk_moe_cudaILi256ELb0EEvPKfPfPiS2_iiff15topk_moe_config: ; @_Z13topk_moe_cudaILi256ELb0EEvPKfPfPiS2_iiff15topk_moe_config
; %bb.0:
	s_load_dword s0, s[4:5], 0x44
	s_load_dwordx4 s[16:19], s[4:5], 0x20
	v_bfe_u32 v1, v0, 10, 10
	s_waitcnt lgkmcnt(0)
	s_lshr_b32 s0, s0, 16
	s_mul_i32 s6, s6, s0
	v_add_u32_e32 v21, s6, v1
	v_cmp_gt_i32_e32 vcc, s16, v21
	s_and_saveexec_b64 s[0:1], vcc
	s_cbranch_execz .LBB19_50
; %bb.1:
	s_load_dwordx4 s[20:23], s[4:5], 0x0
	s_load_dwordx2 s[8:9], s[4:5], 0x10
	v_lshlrev_b32_e32 v2, 8, v21
	v_ashrrev_i32_e32 v3, 31, v2
	v_mov_b32_e32 v1, 0
	v_lshlrev_b64 v[8:9], 2, v[2:3]
	global_load_ushort v16, v1, s[4:5] offset:48
	s_load_dword s0, s[4:5], 0x30
	s_waitcnt lgkmcnt(0)
	v_mov_b32_e32 v1, s21
	v_add_co_u32_e32 v2, vcc, s20, v8
	v_and_b32_e32 v22, 0x3ff, v0
	v_addc_co_u32_e32 v1, vcc, v1, v9, vcc
	v_lshlrev_b32_e32 v20, 2, v22
	v_add_co_u32_e32 v0, vcc, v2, v20
	v_addc_co_u32_e32 v1, vcc, 0, v1, vcc
	global_load_dword v18, v[0:1], off
	global_load_dword v19, v[0:1], off offset:128
	global_load_dword v10, v[0:1], off offset:256
	;; [unrolled: 1-line block ×7, first 2 shown]
	s_bitcmp1_b32 s0, 16
	s_cselect_b64 s[20:21], -1, 0
	s_and_b64 vcc, exec, s[20:21]
	s_cbranch_vccnz .LBB19_7
; %bb.2:
	s_waitcnt vmcnt(8)
	v_and_b32_e32 v0, 1, v16
	v_cmp_eq_u32_e32 vcc, 0, v0
	s_cbranch_vccz .LBB19_4
; %bb.3:
	v_mbcnt_lo_u32_b32 v1, -1, 0
	v_mbcnt_hi_u32_b32 v1, -1, v1
	s_mov_b32 s0, 0xff800000
	v_and_b32_e32 v2, 0x60, v1
	s_waitcnt vmcnt(6)
	v_max3_f32 v0, v18, s0, v19
	v_add_u32_e32 v2, 32, v2
	v_xor_b32_e32 v3, 16, v1
	s_waitcnt vmcnt(4)
	v_max3_f32 v0, v0, v10, v11
	v_cmp_lt_i32_e32 vcc, v3, v2
	s_waitcnt vmcnt(2)
	v_max3_f32 v0, v0, v12, v13
	v_cndmask_b32_e32 v3, v1, v3, vcc
	s_waitcnt vmcnt(0)
	v_max3_f32 v0, v0, v14, v15
	v_lshlrev_b32_e32 v17, 2, v3
	ds_bpermute_b32 v3, v17, v0
	s_mov_b32 s0, 0x3fb8aa3b
	s_mov_b32 s1, 0xc2ce8ed0
	;; [unrolled: 1-line block ×3, first 2 shown]
	v_mov_b32_e32 v24, 0x7f800000
	s_waitcnt lgkmcnt(0)
	v_max_f32_e32 v3, v3, v3
	v_max_f32_e32 v0, v0, v3
	v_xor_b32_e32 v3, 8, v1
	v_cmp_lt_i32_e32 vcc, v3, v2
	v_cndmask_b32_e32 v3, v1, v3, vcc
	v_lshlrev_b32_e32 v23, 2, v3
	ds_bpermute_b32 v3, v23, v0
	s_waitcnt lgkmcnt(0)
	v_max_f32_e32 v3, v3, v3
	v_max_f32_e32 v0, v0, v3
	v_xor_b32_e32 v3, 4, v1
	v_cmp_lt_i32_e32 vcc, v3, v2
	v_cndmask_b32_e32 v3, v1, v3, vcc
	v_lshlrev_b32_e32 v26, 2, v3
	ds_bpermute_b32 v3, v26, v0
	s_waitcnt lgkmcnt(0)
	v_max_f32_e32 v3, v3, v3
	v_max_f32_e32 v0, v0, v3
	v_xor_b32_e32 v3, 2, v1
	v_cmp_lt_i32_e32 vcc, v3, v2
	v_cndmask_b32_e32 v3, v1, v3, vcc
	v_lshlrev_b32_e32 v27, 2, v3
	ds_bpermute_b32 v3, v27, v0
	s_waitcnt lgkmcnt(0)
	v_max_f32_e32 v3, v3, v3
	v_max_f32_e32 v0, v0, v3
	v_xor_b32_e32 v3, 1, v1
	v_cmp_lt_i32_e32 vcc, v3, v2
	v_cndmask_b32_e32 v1, v1, v3, vcc
	v_lshlrev_b32_e32 v28, 2, v1
	ds_bpermute_b32 v1, v28, v0
	s_waitcnt lgkmcnt(0)
	v_max_f32_e32 v1, v1, v1
	v_max_f32_e32 v0, v0, v1
	v_pk_add_f32 v[2:3], v[18:19], v[0:1] op_sel_hi:[1,0] neg_lo:[0,1] neg_hi:[0,1]
	v_mul_f32_e32 v1, 0x3fb8aa3b, v3
	v_fma_f32 v4, v3, s0, -v1
	v_rndne_f32_e32 v5, v1
	v_fmac_f32_e32 v4, 0x32a5705f, v3
	v_sub_f32_e32 v1, v1, v5
	v_add_f32_e32 v1, v1, v4
	v_exp_f32_e32 v1, v1
	v_cvt_i32_f32_e32 v4, v5
	v_cmp_ngt_f32_e32 vcc, s1, v3
	v_ldexp_f32 v1, v1, v4
	v_mul_f32_e32 v4, 0x3fb8aa3b, v2
	v_fma_f32 v5, v2, s0, -v4
	v_rndne_f32_e32 v6, v4
	v_fmac_f32_e32 v5, 0x32a5705f, v2
	v_sub_f32_e32 v4, v4, v6
	v_add_f32_e32 v4, v4, v5
	v_exp_f32_e32 v4, v4
	v_cvt_i32_f32_e32 v5, v6
	v_cndmask_b32_e32 v1, 0, v1, vcc
	v_cmp_nlt_f32_e32 vcc, s2, v3
	v_cndmask_b32_e32 v3, v24, v1, vcc
	v_ldexp_f32 v1, v4, v5
	v_pk_add_f32 v[4:5], v[10:11], v[0:1] op_sel_hi:[1,0] neg_lo:[0,1] neg_hi:[0,1]
	v_mul_f32_e32 v6, 0x3fb8aa3b, v5
	v_fma_f32 v7, v5, s0, -v6
	v_rndne_f32_e32 v25, v6
	v_fmac_f32_e32 v7, 0x32a5705f, v5
	v_sub_f32_e32 v6, v6, v25
	v_add_f32_e32 v6, v6, v7
	v_exp_f32_e32 v6, v6
	v_cvt_i32_f32_e32 v7, v25
	v_cmp_ngt_f32_e32 vcc, s1, v2
	v_cndmask_b32_e32 v1, 0, v1, vcc
	v_cmp_nlt_f32_e32 vcc, s2, v2
	v_cndmask_b32_e32 v2, v24, v1, vcc
	v_ldexp_f32 v1, v6, v7
	v_mul_f32_e32 v6, 0x3fb8aa3b, v4
	v_fma_f32 v7, v4, s0, -v6
	v_rndne_f32_e32 v25, v6
	v_fmac_f32_e32 v7, 0x32a5705f, v4
	v_sub_f32_e32 v6, v6, v25
	v_add_f32_e32 v6, v6, v7
	v_exp_f32_e32 v6, v6
	v_cvt_i32_f32_e32 v7, v25
	v_cmp_ngt_f32_e32 vcc, s1, v5
	v_cndmask_b32_e32 v1, 0, v1, vcc
	v_cmp_nlt_f32_e32 vcc, s2, v5
	v_cndmask_b32_e32 v5, v24, v1, vcc
	v_ldexp_f32 v1, v6, v7
	v_pk_add_f32 v[6:7], v[12:13], v[0:1] op_sel_hi:[1,0] neg_lo:[0,1] neg_hi:[0,1]
	v_mul_f32_e32 v25, 0x3fb8aa3b, v7
	v_fma_f32 v29, v7, s0, -v25
	v_rndne_f32_e32 v30, v25
	v_fmac_f32_e32 v29, 0x32a5705f, v7
	v_sub_f32_e32 v25, v25, v30
	v_add_f32_e32 v25, v25, v29
	v_exp_f32_e32 v25, v25
	v_cvt_i32_f32_e32 v29, v30
	v_cmp_ngt_f32_e32 vcc, s1, v4
	v_cndmask_b32_e32 v1, 0, v1, vcc
	v_cmp_nlt_f32_e32 vcc, s2, v4
	v_cndmask_b32_e32 v4, v24, v1, vcc
	v_ldexp_f32 v1, v25, v29
	v_mul_f32_e32 v25, 0x3fb8aa3b, v6
	v_fma_f32 v29, v6, s0, -v25
	v_rndne_f32_e32 v30, v25
	v_fmac_f32_e32 v29, 0x32a5705f, v6
	v_sub_f32_e32 v25, v25, v30
	v_add_f32_e32 v25, v25, v29
	v_exp_f32_e32 v25, v25
	v_cvt_i32_f32_e32 v29, v30
	v_cmp_ngt_f32_e32 vcc, s1, v7
	v_cndmask_b32_e32 v1, 0, v1, vcc
	v_cmp_nlt_f32_e32 vcc, s2, v7
	v_cndmask_b32_e32 v7, v24, v1, vcc
	v_pk_add_f32 v[0:1], v[14:15], v[0:1] op_sel_hi:[1,0] neg_lo:[0,1] neg_hi:[0,1]
	v_ldexp_f32 v25, v25, v29
	v_mul_f32_e32 v29, 0x3fb8aa3b, v1
	v_fma_f32 v30, v1, s0, -v29
	v_rndne_f32_e32 v31, v29
	v_fmac_f32_e32 v30, 0x32a5705f, v1
	v_sub_f32_e32 v29, v29, v31
	v_add_f32_e32 v29, v29, v30
	v_exp_f32_e32 v29, v29
	v_cvt_i32_f32_e32 v30, v31
	v_cmp_ngt_f32_e32 vcc, s1, v6
	v_cndmask_b32_e32 v25, 0, v25, vcc
	v_cmp_nlt_f32_e32 vcc, s2, v6
	v_cndmask_b32_e32 v6, v24, v25, vcc
	v_ldexp_f32 v25, v29, v30
	v_mul_f32_e32 v29, 0x3fb8aa3b, v0
	v_fma_f32 v30, v0, s0, -v29
	v_rndne_f32_e32 v31, v29
	v_fmac_f32_e32 v30, 0x32a5705f, v0
	v_sub_f32_e32 v29, v29, v31
	v_add_f32_e32 v29, v29, v30
	v_exp_f32_e32 v29, v29
	v_cvt_i32_f32_e32 v30, v31
	v_cmp_ngt_f32_e32 vcc, s1, v1
	v_cndmask_b32_e32 v25, 0, v25, vcc
	v_cmp_nlt_f32_e32 vcc, s2, v1
	v_cndmask_b32_e32 v25, v24, v25, vcc
	v_ldexp_f32 v1, v29, v30
	v_cmp_ngt_f32_e32 vcc, s1, v0
	v_cndmask_b32_e32 v1, 0, v1, vcc
	v_cmp_nlt_f32_e32 vcc, s2, v0
	v_add_f32_e32 v0, v2, v3
	v_add_f32_e32 v0, v4, v0
	;; [unrolled: 1-line block ×4, first 2 shown]
	v_cndmask_b32_e32 v24, v24, v1, vcc
	v_add_f32_e32 v0, v7, v0
	v_add_f32_e32 v0, v24, v0
	;; [unrolled: 1-line block ×3, first 2 shown]
	ds_bpermute_b32 v1, v17, v0
	s_waitcnt lgkmcnt(0)
	v_add_f32_e32 v0, v0, v1
	ds_bpermute_b32 v1, v23, v0
	s_waitcnt lgkmcnt(0)
	v_add_f32_e32 v0, v0, v1
	;; [unrolled: 3-line block ×5, first 2 shown]
	v_div_scale_f32 v1, s[0:1], v0, v0, 1.0
	v_rcp_f32_e32 v17, v1
	v_fma_f32 v23, -v1, v17, 1.0
	v_fmac_f32_e32 v17, v23, v17
	v_div_scale_f32 v23, vcc, 1.0, v0, 1.0
	v_mul_f32_e32 v26, v23, v17
	v_fma_f32 v27, -v1, v26, v23
	v_fmac_f32_e32 v26, v27, v17
	v_fma_f32 v1, -v1, v26, v23
	v_div_fmas_f32 v1, v1, v17, v26
	v_div_fixup_f32 v26, v1, v0, 1.0
	v_pk_mul_f32 v[0:1], v[2:3], v[26:27] op_sel_hi:[1,0]
	v_pk_mul_f32 v[2:3], v[4:5], v[26:27] op_sel_hi:[1,0]
	;; [unrolled: 1-line block ×4, first 2 shown]
	s_cbranch_execz .LBB19_5
	s_branch .LBB19_6
.LBB19_4:
                                        ; implicit-def: $vgpr7
                                        ; implicit-def: $vgpr5
                                        ; implicit-def: $vgpr3
                                        ; implicit-def: $vgpr1
.LBB19_5:
	s_waitcnt vmcnt(6)
	v_mul_f32_e32 v0, 0xbfb8aa3b, v19
	s_mov_b32 s2, 0xbfb8aa3b
	v_rndne_f32_e32 v1, v0
	v_sub_f32_e32 v2, v0, v1
	v_fma_f32 v0, v19, s2, -v0
	v_fmac_f32_e32 v0, 0xb2a5705f, v19
	v_add_f32_e32 v0, v2, v0
	v_exp_f32_e32 v0, v0
	v_cvt_i32_f32_e32 v1, v1
	s_mov_b32 s3, 0x42ce8ed0
	v_cmp_nlt_f32_e32 vcc, s3, v19
	s_mov_b32 s4, 0xc2b17218
	v_ldexp_f32 v0, v0, v1
	v_mul_f32_e32 v1, 0xbfb8aa3b, v18
	v_rndne_f32_e32 v2, v1
	v_sub_f32_e32 v3, v1, v2
	v_fma_f32 v1, v18, s2, -v1
	v_fmac_f32_e32 v1, 0xb2a5705f, v18
	v_add_f32_e32 v1, v3, v1
	v_exp_f32_e32 v3, v1
	v_cvt_i32_f32_e32 v2, v2
	v_cndmask_b32_e32 v0, 0, v0, vcc
	v_mov_b32_e32 v6, 0x7f800000
	v_cmp_ngt_f32_e32 vcc, s4, v19
	v_cndmask_b32_e32 v1, v6, v0, vcc
	v_ldexp_f32 v0, v3, v2
	v_cmp_nlt_f32_e32 vcc, s3, v18
	v_cndmask_b32_e32 v0, 0, v0, vcc
	v_cmp_ngt_f32_e32 vcc, s4, v18
	v_cndmask_b32_e32 v0, v6, v0, vcc
	v_pk_add_f32 v[0:1], v[0:1], 1.0 op_sel_hi:[1,0]
	v_div_scale_f32 v2, s[0:1], v0, v0, 1.0
	v_rcp_f32_e32 v3, v2
	v_fma_f32 v4, -v2, v3, 1.0
	v_fmac_f32_e32 v3, v4, v3
	v_div_scale_f32 v4, vcc, 1.0, v0, 1.0
	v_mul_f32_e32 v5, v4, v3
	v_fma_f32 v7, -v2, v5, v4
	v_fmac_f32_e32 v5, v7, v3
	v_fma_f32 v2, -v2, v5, v4
	v_div_scale_f32 v4, s[0:1], v1, v1, 1.0
	v_rcp_f32_e32 v7, v4
	v_div_fmas_f32 v2, v2, v3, v5
	s_waitcnt vmcnt(4)
	v_mul_f32_e32 v3, 0xbfb8aa3b, v11
	v_rndne_f32_e32 v17, v3
	v_sub_f32_e32 v18, v3, v17
	v_fma_f32 v3, v11, s2, -v3
	v_fmac_f32_e32 v3, 0xb2a5705f, v11
	v_div_fixup_f32 v0, v2, v0, 1.0
	v_fma_f32 v2, -v4, v7, 1.0
	v_add_f32_e32 v3, v18, v3
	v_fmac_f32_e32 v7, v2, v7
	v_div_scale_f32 v2, vcc, 1.0, v1, 1.0
	v_exp_f32_e32 v3, v3
	v_cvt_i32_f32_e32 v17, v17
	v_mul_f32_e32 v5, v2, v7
	v_fma_f32 v18, -v4, v5, v2
	v_fmac_f32_e32 v5, v18, v7
	v_fma_f32 v4, -v4, v5, v2
	v_ldexp_f32 v2, v3, v17
	v_mul_f32_e32 v3, 0xbfb8aa3b, v10
	v_rndne_f32_e32 v17, v3
	v_sub_f32_e32 v18, v3, v17
	v_fma_f32 v3, v10, s2, -v3
	v_fmac_f32_e32 v3, 0xb2a5705f, v10
	v_add_f32_e32 v3, v18, v3
	v_exp_f32_e32 v18, v3
	v_cvt_i32_f32_e32 v17, v17
	v_cmp_nlt_f32_e64 s[0:1], s3, v11
	v_cndmask_b32_e64 v2, 0, v2, s[0:1]
	v_cmp_ngt_f32_e64 s[0:1], s4, v11
	v_cndmask_b32_e64 v3, v6, v2, s[0:1]
	v_ldexp_f32 v2, v18, v17
	v_cmp_nlt_f32_e64 s[0:1], s3, v10
	v_cndmask_b32_e64 v2, 0, v2, s[0:1]
	v_cmp_ngt_f32_e64 s[0:1], s4, v10
	v_cndmask_b32_e64 v2, v6, v2, s[0:1]
	v_pk_add_f32 v[2:3], v[2:3], 1.0 op_sel_hi:[1,0]
	v_div_scale_f32 v10, s[0:1], v2, v2, 1.0
	v_rcp_f32_e32 v11, v10
	v_div_fmas_f32 v4, v4, v7, v5
	v_div_fixup_f32 v1, v4, v1, 1.0
	v_fma_f32 v4, -v10, v11, 1.0
	v_fmac_f32_e32 v11, v4, v11
	v_div_scale_f32 v4, vcc, 1.0, v2, 1.0
	v_mul_f32_e32 v5, v4, v11
	v_fma_f32 v7, -v10, v5, v4
	v_fmac_f32_e32 v5, v7, v11
	v_fma_f32 v4, -v10, v5, v4
	v_div_scale_f32 v7, s[0:1], v3, v3, 1.0
	v_rcp_f32_e32 v10, v7
	v_div_fmas_f32 v4, v4, v11, v5
	s_waitcnt vmcnt(2)
	v_mul_f32_e32 v5, 0xbfb8aa3b, v13
	v_rndne_f32_e32 v17, v5
	v_sub_f32_e32 v18, v5, v17
	v_fma_f32 v5, v13, s2, -v5
	v_fmac_f32_e32 v5, 0xb2a5705f, v13
	v_div_fixup_f32 v2, v4, v2, 1.0
	v_fma_f32 v4, -v7, v10, 1.0
	v_add_f32_e32 v5, v18, v5
	v_fmac_f32_e32 v10, v4, v10
	v_div_scale_f32 v4, vcc, 1.0, v3, 1.0
	v_exp_f32_e32 v5, v5
	v_cvt_i32_f32_e32 v17, v17
	v_mul_f32_e32 v11, v4, v10
	v_fma_f32 v18, -v7, v11, v4
	v_fmac_f32_e32 v11, v18, v10
	v_fma_f32 v7, -v7, v11, v4
	v_ldexp_f32 v4, v5, v17
	v_mul_f32_e32 v5, 0xbfb8aa3b, v12
	v_rndne_f32_e32 v17, v5
	v_sub_f32_e32 v18, v5, v17
	v_fma_f32 v5, v12, s2, -v5
	v_fmac_f32_e32 v5, 0xb2a5705f, v12
	v_add_f32_e32 v5, v18, v5
	v_exp_f32_e32 v18, v5
	v_cvt_i32_f32_e32 v17, v17
	v_cmp_nlt_f32_e64 s[0:1], s3, v13
	v_cndmask_b32_e64 v4, 0, v4, s[0:1]
	v_cmp_ngt_f32_e64 s[0:1], s4, v13
	v_cndmask_b32_e64 v5, v6, v4, s[0:1]
	v_ldexp_f32 v4, v18, v17
	v_cmp_nlt_f32_e64 s[0:1], s3, v12
	v_cndmask_b32_e64 v4, 0, v4, s[0:1]
	v_cmp_ngt_f32_e64 s[0:1], s4, v12
	v_cndmask_b32_e64 v4, v6, v4, s[0:1]
	v_pk_add_f32 v[4:5], v[4:5], 1.0 op_sel_hi:[1,0]
	v_div_scale_f32 v12, s[0:1], v4, v4, 1.0
	v_rcp_f32_e32 v13, v12
	v_div_fmas_f32 v7, v7, v10, v11
	v_div_fixup_f32 v3, v7, v3, 1.0
	;; [unrolled: 50-line block ×3, first 2 shown]
	v_fma_f32 v10, -v13, v14, 1.0
	v_fmac_f32_e32 v14, v10, v14
	v_div_scale_f32 v10, vcc, 1.0, v6, 1.0
	v_mul_f32_e32 v11, v10, v14
	v_fma_f32 v12, -v13, v11, v10
	v_fmac_f32_e32 v11, v12, v14
	v_div_scale_f32 v12, s[0:1], v7, v7, 1.0
	v_fma_f32 v10, -v13, v11, v10
	v_rcp_f32_e32 v13, v12
	v_div_fmas_f32 v10, v10, v14, v11
	v_div_fixup_f32 v6, v10, v6, 1.0
	v_fma_f32 v10, -v12, v13, 1.0
	v_fmac_f32_e32 v13, v10, v13
	v_div_scale_f32 v10, vcc, 1.0, v7, 1.0
	v_mul_f32_e32 v11, v10, v13
	v_fma_f32 v14, -v12, v11, v10
	v_fmac_f32_e32 v11, v14, v13
	v_fma_f32 v10, -v12, v11, v10
	v_div_fmas_f32 v10, v10, v13, v11
	v_div_fixup_f32 v7, v10, v7, 1.0
.LBB19_6:
	s_waitcnt vmcnt(7)
	v_mov_b32_e32 v18, v0
	s_waitcnt vmcnt(6)
	v_mov_b32_e32 v19, v1
	;; [unrolled: 2-line block ×8, first 2 shown]
.LBB19_7:
	s_waitcnt vmcnt(8)
	v_lshrrev_b16_e32 v0, 8, v16
	s_cmp_gt_i32 s17, 0
	v_readfirstlane_b32 s12, v0
	s_cbranch_scc1 .LBB19_9
; %bb.8:
	s_mov_b32 s0, 0
	s_bitcmp1_b32 s12, 0
	s_mov_b32 s1, s0
	s_mov_b32 s2, s0
	;; [unrolled: 1-line block ×7, first 2 shown]
	s_mov_b64 s[10:11], 0
	s_cselect_b64 s[24:25], -1, 0
	s_branch .LBB19_10
.LBB19_9:
	s_mov_b64 s[10:11], -1
                                        ; implicit-def: $sgpr0
                                        ; implicit-def: $sgpr24_sgpr25
.LBB19_10:
	v_pk_mov_b32 v[0:1], s[0:1], s[0:1] op_sel:[0,1]
	v_add_u32_e32 v29, 32, v22
	v_add_u32_e32 v28, 64, v22
	v_add_u32_e32 v27, 0x60, v22
	v_add_u32_e32 v26, 0x80, v22
	v_add_u32_e32 v25, 0xa0, v22
	v_add_u32_e32 v24, 0xc0, v22
	v_add_u32_e32 v23, 0xe0, v22
	s_andn2_b64 vcc, exec, s[10:11]
	v_mov_b32_e32 v31, s0
	v_pk_mov_b32 v[2:3], s[2:3], s[2:3] op_sel:[0,1]
	v_pk_mov_b32 v[4:5], s[4:5], s[4:5] op_sel:[0,1]
	;; [unrolled: 1-line block ×3, first 2 shown]
	v_mbcnt_lo_u32_b32 v30, -1, 0
	s_cbranch_vccnz .LBB19_37
; %bb.11:
	v_mov_b32_e32 v0, s9
	v_add_co_u32_e32 v16, vcc, s8, v8
	v_addc_co_u32_e32 v17, vcc, v0, v9, vcc
	v_mbcnt_hi_u32_b32 v0, -1, v30
	v_and_b32_e32 v1, 0x60, v0
	v_add_u32_e32 v1, 32, v1
	v_xor_b32_e32 v2, 16, v0
	v_cmp_lt_i32_e64 s[4:5], v2, v1
	v_mov_b32_e32 v36, 0xff7fffff
	s_waitcnt vmcnt(7)
	v_cmp_o_f32_e32 vcc, v18, v18
	v_cndmask_b32_e64 v2, v0, v2, s[4:5]
	v_cndmask_b32_e32 v8, v36, v18, vcc
	v_lshlrev_b32_e32 v18, 2, v2
	v_xor_b32_e32 v2, 8, v0
	v_cmp_lt_i32_e64 s[4:5], v2, v1
	s_waitcnt vmcnt(6)
	v_cmp_o_f32_e32 vcc, v19, v19
	v_cndmask_b32_e64 v2, v0, v2, s[4:5]
	v_cndmask_b32_e32 v9, v36, v19, vcc
	v_lshlrev_b32_e32 v19, 2, v2
	v_xor_b32_e32 v2, 4, v0
	v_cmp_lt_i32_e64 s[4:5], v2, v1
	v_cndmask_b32_e64 v2, v0, v2, s[4:5]
	v_lshlrev_b32_e32 v32, 2, v2
	v_xor_b32_e32 v2, 2, v0
	v_cmp_lt_i32_e64 s[4:5], v2, v1
	v_cndmask_b32_e64 v2, v0, v2, s[4:5]
	s_waitcnt vmcnt(5)
	v_cmp_o_f32_e32 vcc, v10, v10
	v_lshlrev_b32_e32 v33, 2, v2
	v_xor_b32_e32 v2, 1, v0
	v_cndmask_b32_e32 v10, v36, v10, vcc
	s_waitcnt vmcnt(4)
	v_cmp_o_f32_e32 vcc, v11, v11
	v_cmp_lt_i32_e64 s[4:5], v2, v1
	v_cndmask_b32_e32 v11, v36, v11, vcc
	s_waitcnt vmcnt(2)
	v_cmp_o_f32_e32 vcc, v13, v13
	s_waitcnt vmcnt(1)
	v_cmp_o_f32_e64 s[0:1], v14, v14
	s_waitcnt vmcnt(0)
	v_cmp_o_f32_e64 s[2:3], v15, v15
	s_bitcmp1_b32 s12, 0
	v_cndmask_b32_e64 v0, v0, v2, s[4:5]
	v_cmp_o_f32_e64 s[4:5], v12, v12
	s_mov_b32 s16, 0
	s_cselect_b64 s[24:25], -1, 0
	v_lshlrev_b32_e32 v34, 2, v0
	v_mov_b32_e32 v31, 0
	v_mov_b32_e32 v35, 0xff800000
	;; [unrolled: 1-line block ×10, first 2 shown]
	v_cndmask_b32_e64 v12, v36, v12, s[4:5]
	v_cndmask_b32_e32 v13, v36, v13, vcc
	v_cndmask_b32_e64 v14, v36, v14, s[0:1]
	v_cndmask_b32_e64 v15, v36, v15, s[2:3]
	s_branch .LBB19_13
.LBB19_12:                              ;   in Loop: Header=BB19_13 Depth=1
	s_or_b64 exec, exec, s[0:1]
	s_and_b32 s0, s16, 31
	v_cmp_eq_u32_e32 vcc, s0, v22
	s_lshr_b32 s0, s16, 5
	s_cmp_eq_u32 s0, 0
	s_cselect_b64 s[2:3], -1, 0
	s_cmp_eq_u32 s0, 1
	s_cselect_b64 s[4:5], -1, 0
	;; [unrolled: 2-line block ×8, first 2 shown]
	s_and_b64 s[0:1], vcc, s[0:1]
	v_cndmask_b32_e64 v7, v7, v36, s[0:1]
	s_and_b64 s[0:1], vcc, s[14:15]
	v_cndmask_b32_e64 v6, v6, v36, s[0:1]
	;; [unrolled: 2-line block ×6, first 2 shown]
	s_and_b64 s[0:1], vcc, s[4:5]
	s_and_b64 vcc, vcc, s[2:3]
	v_cndmask_b32_e32 v0, v0, v36, vcc
	s_add_i32 s16, s16, 1
	v_add_co_u32_e32 v16, vcc, 4, v16
	v_cndmask_b32_e64 v1, v1, v36, s[0:1]
	s_cmp_eq_u32 s17, s16
	v_addc_co_u32_e32 v17, vcc, 0, v17, vcc
	s_cbranch_scc1 .LBB19_37
.LBB19_13:                              ; =>This Inner Loop Header: Depth=1
	v_cmp_gt_f32_e32 vcc, v9, v8
	v_cndmask_b32_e32 v36, v8, v9, vcc
	v_cmp_gt_f32_e64 s[0:1], v10, v36
	v_cndmask_b32_e64 v36, v36, v10, s[0:1]
	v_cndmask_b32_e32 v37, v22, v29, vcc
	v_cmp_gt_f32_e32 vcc, v11, v36
	v_cndmask_b32_e64 v37, v37, v28, s[0:1]
	v_cndmask_b32_e32 v36, v36, v11, vcc
	v_cndmask_b32_e32 v37, v37, v27, vcc
	v_cmp_gt_f32_e32 vcc, v12, v36
	v_cndmask_b32_e32 v36, v36, v12, vcc
	v_cndmask_b32_e32 v37, v37, v26, vcc
	v_cmp_gt_f32_e32 vcc, v13, v36
	;; [unrolled: 3-line block ×4, first 2 shown]
	v_cndmask_b32_e32 v36, v36, v15, vcc
	v_cndmask_b32_e32 v37, v37, v23, vcc
	ds_bpermute_b32 v38, v18, v36
	s_waitcnt lgkmcnt(1)
	ds_bpermute_b32 v39, v18, v37
	s_waitcnt lgkmcnt(1)
	v_cmp_lt_f32_e64 s[2:3], v36, v38
	v_cmp_nlt_f32_e32 vcc, v36, v38
	s_and_saveexec_b64 s[4:5], vcc
	s_cbranch_execz .LBB19_15
; %bb.14:                               ;   in Loop: Header=BB19_13 Depth=1
	v_cmp_eq_f32_e32 vcc, v36, v38
	s_waitcnt lgkmcnt(0)
	v_cmp_lt_i32_e64 s[0:1], v39, v37
	s_and_b64 s[0:1], vcc, s[0:1]
	s_andn2_b64 s[2:3], s[2:3], exec
	s_and_b64 s[0:1], s[0:1], exec
	s_or_b64 s[2:3], s[2:3], s[0:1]
.LBB19_15:                              ;   in Loop: Header=BB19_13 Depth=1
	s_or_b64 exec, exec, s[4:5]
	s_and_saveexec_b64 s[0:1], s[2:3]
	s_cbranch_execz .LBB19_17
; %bb.16:                               ;   in Loop: Header=BB19_13 Depth=1
	v_mov_b32_e32 v36, v38
	s_waitcnt lgkmcnt(0)
	v_mov_b32_e32 v37, v39
.LBB19_17:                              ;   in Loop: Header=BB19_13 Depth=1
	s_or_b64 exec, exec, s[0:1]
	s_waitcnt lgkmcnt(0)
	ds_bpermute_b32 v39, v19, v36
	ds_bpermute_b32 v38, v19, v37
	s_waitcnt lgkmcnt(1)
	v_cmp_lt_f32_e64 s[2:3], v36, v39
	v_cmp_nlt_f32_e32 vcc, v36, v39
	s_and_saveexec_b64 s[4:5], vcc
	s_cbranch_execz .LBB19_19
; %bb.18:                               ;   in Loop: Header=BB19_13 Depth=1
	v_cmp_eq_f32_e32 vcc, v36, v39
	s_waitcnt lgkmcnt(0)
	v_cmp_lt_i32_e64 s[0:1], v38, v37
	s_and_b64 s[0:1], vcc, s[0:1]
	s_andn2_b64 s[2:3], s[2:3], exec
	s_and_b64 s[0:1], s[0:1], exec
	s_or_b64 s[2:3], s[2:3], s[0:1]
.LBB19_19:                              ;   in Loop: Header=BB19_13 Depth=1
	s_or_b64 exec, exec, s[4:5]
	s_and_saveexec_b64 s[0:1], s[2:3]
	s_cbranch_execz .LBB19_21
; %bb.20:                               ;   in Loop: Header=BB19_13 Depth=1
	v_mov_b32_e32 v36, v39
	s_waitcnt lgkmcnt(0)
	v_mov_b32_e32 v37, v38
.LBB19_21:                              ;   in Loop: Header=BB19_13 Depth=1
	s_or_b64 exec, exec, s[0:1]
	ds_bpermute_b32 v39, v32, v36
	s_waitcnt lgkmcnt(1)
	ds_bpermute_b32 v38, v32, v37
	s_waitcnt lgkmcnt(1)
	v_cmp_lt_f32_e64 s[2:3], v36, v39
	v_cmp_nlt_f32_e32 vcc, v36, v39
	s_and_saveexec_b64 s[4:5], vcc
	s_cbranch_execz .LBB19_23
; %bb.22:                               ;   in Loop: Header=BB19_13 Depth=1
	v_cmp_eq_f32_e32 vcc, v36, v39
	s_waitcnt lgkmcnt(0)
	v_cmp_lt_i32_e64 s[0:1], v38, v37
	s_and_b64 s[0:1], vcc, s[0:1]
	s_andn2_b64 s[2:3], s[2:3], exec
	s_and_b64 s[0:1], s[0:1], exec
	s_or_b64 s[2:3], s[2:3], s[0:1]
.LBB19_23:                              ;   in Loop: Header=BB19_13 Depth=1
	s_or_b64 exec, exec, s[4:5]
	s_and_saveexec_b64 s[0:1], s[2:3]
	s_cbranch_execz .LBB19_25
; %bb.24:                               ;   in Loop: Header=BB19_13 Depth=1
	v_mov_b32_e32 v36, v39
	s_waitcnt lgkmcnt(0)
	v_mov_b32_e32 v37, v38
.LBB19_25:                              ;   in Loop: Header=BB19_13 Depth=1
	s_or_b64 exec, exec, s[0:1]
	ds_bpermute_b32 v39, v33, v36
	s_waitcnt lgkmcnt(1)
	ds_bpermute_b32 v38, v33, v37
	s_waitcnt lgkmcnt(1)
	v_cmp_lt_f32_e64 s[2:3], v36, v39
	v_cmp_nlt_f32_e32 vcc, v36, v39
	s_and_saveexec_b64 s[4:5], vcc
	s_cbranch_execz .LBB19_27
; %bb.26:                               ;   in Loop: Header=BB19_13 Depth=1
	v_cmp_eq_f32_e32 vcc, v36, v39
	s_waitcnt lgkmcnt(0)
	v_cmp_lt_i32_e64 s[0:1], v38, v37
	s_and_b64 s[0:1], vcc, s[0:1]
	s_andn2_b64 s[2:3], s[2:3], exec
	s_and_b64 s[0:1], s[0:1], exec
	s_or_b64 s[2:3], s[2:3], s[0:1]
.LBB19_27:                              ;   in Loop: Header=BB19_13 Depth=1
	s_or_b64 exec, exec, s[4:5]
	s_and_saveexec_b64 s[0:1], s[2:3]
	s_cbranch_execz .LBB19_29
; %bb.28:                               ;   in Loop: Header=BB19_13 Depth=1
	v_mov_b32_e32 v36, v39
	s_waitcnt lgkmcnt(0)
	v_mov_b32_e32 v37, v38
.LBB19_29:                              ;   in Loop: Header=BB19_13 Depth=1
	s_or_b64 exec, exec, s[0:1]
	s_waitcnt lgkmcnt(0)
	ds_bpermute_b32 v38, v34, v36
	ds_bpermute_b32 v39, v34, v37
	s_waitcnt lgkmcnt(1)
	v_cmp_lt_f32_e64 s[2:3], v36, v38
	v_cmp_nlt_f32_e32 vcc, v36, v38
	s_and_saveexec_b64 s[4:5], vcc
	s_cbranch_execz .LBB19_31
; %bb.30:                               ;   in Loop: Header=BB19_13 Depth=1
	v_cmp_eq_f32_e32 vcc, v36, v38
	s_waitcnt lgkmcnt(0)
	v_cmp_lt_i32_e64 s[0:1], v39, v37
	s_and_b64 s[0:1], vcc, s[0:1]
	s_andn2_b64 s[2:3], s[2:3], exec
	s_and_b64 s[0:1], s[0:1], exec
	s_or_b64 s[2:3], s[2:3], s[0:1]
.LBB19_31:                              ;   in Loop: Header=BB19_13 Depth=1
	s_or_b64 exec, exec, s[4:5]
	s_and_saveexec_b64 s[0:1], s[2:3]
	s_cbranch_execz .LBB19_33
; %bb.32:                               ;   in Loop: Header=BB19_13 Depth=1
	v_mov_b32_e32 v36, v38
	s_waitcnt lgkmcnt(0)
	v_mov_b32_e32 v37, v39
.LBB19_33:                              ;   in Loop: Header=BB19_13 Depth=1
	s_or_b64 exec, exec, s[0:1]
	v_and_b32_e32 v38, 31, v37
	v_cmp_eq_u32_e32 vcc, v38, v22
	s_and_saveexec_b64 s[26:27], vcc
	s_cbranch_execz .LBB19_35
; %bb.34:                               ;   in Loop: Header=BB19_13 Depth=1
	v_ashrrev_i32_e32 v38, 31, v37
	v_lshrrev_b32_e32 v38, 27, v38
	v_add_u32_e32 v38, v37, v38
	v_ashrrev_i32_e32 v38, 5, v38
	v_cmp_ne_u32_e64 s[0:1], 6, v38
	v_cmp_ne_u32_e64 s[2:3], 5, v38
	;; [unrolled: 1-line block ×8, first 2 shown]
	v_cndmask_b32_e64 v15, v35, v15, s[14:15]
	v_cndmask_b32_e64 v14, v35, v14, s[0:1]
	;; [unrolled: 1-line block ×8, first 2 shown]
.LBB19_35:                              ;   in Loop: Header=BB19_13 Depth=1
	s_or_b64 exec, exec, s[26:27]
	s_and_saveexec_b64 s[0:1], vcc
	s_cbranch_execz .LBB19_12
; %bb.36:                               ;   in Loop: Header=BB19_13 Depth=1
	v_add_f32_e32 v38, v31, v36
	v_cndmask_b32_e64 v31, v31, v38, s[24:25]
	global_store_dword v[16:17], v37, off
	s_branch .LBB19_12
.LBB19_37:
	s_and_b64 vcc, exec, s[24:25]
	s_cbranch_vccz .LBB19_39
; %bb.38:
	v_mbcnt_hi_u32_b32 v8, -1, v30
	v_and_b32_e32 v9, 0x60, v8
	v_add_u32_e32 v9, 32, v9
	s_waitcnt vmcnt(5)
	v_xor_b32_e32 v10, 16, v8
	v_cmp_lt_i32_e32 vcc, v10, v9
	v_cndmask_b32_e32 v10, v8, v10, vcc
	v_lshlrev_b32_e32 v10, 2, v10
	ds_bpermute_b32 v10, v10, v31
	s_waitcnt vmcnt(4)
	v_xor_b32_e32 v11, 8, v8
	v_cmp_lt_i32_e32 vcc, v11, v9
	v_cndmask_b32_e32 v11, v8, v11, vcc
	v_lshlrev_b32_e32 v11, 2, v11
	s_waitcnt lgkmcnt(0)
	v_add_f32_e32 v10, v31, v10
	ds_bpermute_b32 v11, v11, v10
	s_waitcnt vmcnt(3)
	v_xor_b32_e32 v12, 4, v8
	v_cmp_lt_i32_e32 vcc, v12, v9
	s_waitcnt lgkmcnt(0)
	v_add_f32_e32 v10, v10, v11
	v_cndmask_b32_e32 v11, v8, v12, vcc
	v_lshlrev_b32_e32 v11, 2, v11
	ds_bpermute_b32 v11, v11, v10
	v_xor_b32_e32 v12, 2, v8
	v_cmp_lt_i32_e32 vcc, v12, v9
	s_waitcnt lgkmcnt(0)
	v_add_f32_e32 v10, v10, v11
	v_cndmask_b32_e32 v11, v8, v12, vcc
	v_lshlrev_b32_e32 v11, 2, v11
	ds_bpermute_b32 v11, v11, v10
	v_xor_b32_e32 v12, 1, v8
	v_cmp_lt_i32_e32 vcc, v12, v9
	v_cndmask_b32_e32 v8, v8, v12, vcc
	v_lshlrev_b32_e32 v8, 2, v8
	s_waitcnt lgkmcnt(0)
	v_add_f32_e32 v10, v10, v11
	ds_bpermute_b32 v8, v8, v10
	v_max_f32_e64 v9, s18, s18
	s_waitcnt lgkmcnt(0)
	v_add_f32_e32 v8, v10, v8
	v_max_f32_e32 v8, v8, v9
	v_div_scale_f32 v9, s[0:1], v8, v8, 1.0
	v_rcp_f32_e32 v10, v9
	v_div_scale_f32 v11, vcc, 1.0, v8, 1.0
	v_fma_f32 v12, -v9, v10, 1.0
	v_fmac_f32_e32 v10, v12, v10
	v_mul_f32_e32 v12, v11, v10
	s_waitcnt vmcnt(2)
	v_fma_f32 v13, -v9, v12, v11
	v_fmac_f32_e32 v12, v13, v10
	v_fma_f32 v9, -v9, v12, v11
	v_div_fmas_f32 v9, v9, v10, v12
	v_div_fixup_f32 v8, v9, v8, 1.0
	v_pk_mul_f32 v[6:7], v[8:9], v[6:7] op_sel_hi:[0,1]
	v_pk_mul_f32 v[4:5], v[8:9], v[4:5] op_sel_hi:[0,1]
	;; [unrolled: 1-line block ×4, first 2 shown]
.LBB19_39:
	s_andn2_b64 vcc, exec, s[20:21]
	v_cmp_gt_i32_e64 s[12:13], s17, v29
	v_cmp_gt_i32_e64 s[10:11], s17, v28
	;; [unrolled: 1-line block ×8, first 2 shown]
	s_cbranch_vccnz .LBB19_41
; %bb.40:
	v_max_f32_e32 v8, v0, v0
	v_max_f32_e32 v8, 0xff800000, v8
	v_mov_b32_e32 v9, 0xff800000
	v_cndmask_b32_e64 v8, v9, v8, s[14:15]
	v_max_f32_e32 v9, v1, v1
	v_max_f32_e32 v9, v8, v9
	v_cndmask_b32_e64 v8, v8, v9, s[12:13]
	v_max_f32_e32 v9, v2, v2
	v_max_f32_e32 v9, v8, v9
	;; [unrolled: 3-line block ×4, first 2 shown]
	v_cndmask_b32_e64 v8, v8, v9, s[6:7]
	v_max_f32_e32 v9, v8, v8
	s_waitcnt vmcnt(5)
	v_max_f32_e32 v10, v5, v5
	v_max_f32_e32 v9, v9, v10
	v_cndmask_b32_e64 v8, v8, v9, s[4:5]
	v_max_f32_e32 v9, v8, v8
	v_max_f32_e32 v10, v6, v6
	;; [unrolled: 1-line block ×3, first 2 shown]
	v_cndmask_b32_e64 v8, v8, v9, s[2:3]
	v_max_f32_e32 v9, v8, v8
	v_max_f32_e32 v10, v7, v7
	;; [unrolled: 1-line block ×3, first 2 shown]
	v_cndmask_b32_e64 v8, v8, v9, s[0:1]
	v_mbcnt_hi_u32_b32 v9, -1, v30
	v_and_b32_e32 v10, 0x60, v9
	v_add_u32_e32 v10, 32, v10
	s_waitcnt vmcnt(4)
	v_xor_b32_e32 v11, 16, v9
	v_cmp_lt_i32_e32 vcc, v11, v10
	v_cndmask_b32_e32 v11, v9, v11, vcc
	v_lshlrev_b32_e32 v11, 2, v11
	s_waitcnt vmcnt(3)
	ds_bpermute_b32 v12, v11, v8
	v_max_f32_e32 v8, v8, v8
	s_mov_b32 s16, 0x3fb8aa3b
	s_mov_b32 s18, 0xc2ce8ed0
	;; [unrolled: 1-line block ×3, first 2 shown]
	s_waitcnt lgkmcnt(0)
	v_max_f32_e32 v12, v12, v12
	v_max_f32_e32 v8, v8, v12
	v_xor_b32_e32 v12, 8, v9
	v_cmp_lt_i32_e32 vcc, v12, v10
	v_cndmask_b32_e32 v12, v9, v12, vcc
	v_lshlrev_b32_e32 v12, 2, v12
	s_waitcnt vmcnt(2)
	ds_bpermute_b32 v13, v12, v8
	s_waitcnt lgkmcnt(0)
	v_max_f32_e32 v13, v13, v13
	v_max_f32_e32 v8, v8, v13
	v_xor_b32_e32 v13, 4, v9
	v_cmp_lt_i32_e32 vcc, v13, v10
	v_cndmask_b32_e32 v13, v9, v13, vcc
	v_lshlrev_b32_e32 v13, 2, v13
	s_waitcnt vmcnt(1)
	ds_bpermute_b32 v14, v13, v8
	;; [unrolled: 9-line block ×3, first 2 shown]
	s_waitcnt lgkmcnt(0)
	v_max_f32_e32 v15, v15, v15
	v_max_f32_e32 v8, v8, v15
	v_xor_b32_e32 v15, 1, v9
	v_cmp_lt_i32_e32 vcc, v15, v10
	v_cndmask_b32_e32 v9, v9, v15, vcc
	v_lshlrev_b32_e32 v9, 2, v9
	ds_bpermute_b32 v10, v9, v8
	s_waitcnt lgkmcnt(0)
	v_max_f32_e32 v10, v10, v10
	v_max_f32_e32 v8, v8, v10
	v_sub_f32_e32 v0, v0, v8
	v_mul_f32_e32 v10, 0x3fb8aa3b, v0
	v_fma_f32 v15, v0, s16, -v10
	v_rndne_f32_e32 v16, v10
	v_fmac_f32_e32 v15, 0x32a5705f, v0
	v_sub_f32_e32 v10, v10, v16
	v_sub_f32_e32 v1, v1, v8
	v_add_f32_e32 v10, v10, v15
	v_cvt_i32_f32_e32 v15, v16
	v_mul_f32_e32 v16, 0x3fb8aa3b, v1
	v_fma_f32 v17, v1, s16, -v16
	v_rndne_f32_e32 v18, v16
	v_exp_f32_e32 v10, v10
	v_fmac_f32_e32 v17, 0x32a5705f, v1
	v_sub_f32_e32 v16, v16, v18
	v_add_f32_e32 v16, v16, v17
	v_exp_f32_e32 v16, v16
	v_cvt_i32_f32_e32 v17, v18
	v_ldexp_f32 v10, v10, v15
	v_cmp_ngt_f32_e32 vcc, s18, v0
	v_cndmask_b32_e32 v10, 0, v10, vcc
	v_mov_b32_e32 v15, 0x7f800000
	v_cmp_nlt_f32_e32 vcc, s20, v0
	v_sub_f32_e32 v2, v2, v8
	v_cndmask_b32_e32 v0, v15, v10, vcc
	v_ldexp_f32 v10, v16, v17
	v_mul_f32_e32 v16, 0x3fb8aa3b, v2
	v_fma_f32 v17, v2, s16, -v16
	v_rndne_f32_e32 v18, v16
	v_fmac_f32_e32 v17, 0x32a5705f, v2
	v_sub_f32_e32 v16, v16, v18
	v_add_f32_e32 v16, v16, v17
	v_exp_f32_e32 v16, v16
	v_cvt_i32_f32_e32 v17, v18
	v_sub_f32_e32 v3, v3, v8
	v_cmp_ngt_f32_e32 vcc, s18, v1
	v_cndmask_b32_e32 v10, 0, v10, vcc
	v_ldexp_f32 v16, v16, v17
	v_mul_f32_e32 v17, 0x3fb8aa3b, v3
	v_fma_f32 v18, v3, s16, -v17
	v_rndne_f32_e32 v19, v17
	v_fmac_f32_e32 v18, 0x32a5705f, v3
	v_sub_f32_e32 v17, v17, v19
	v_cmp_nlt_f32_e32 vcc, s20, v1
	v_add_f32_e32 v17, v17, v18
	v_cndmask_b32_e64 v0, 0, v0, s[14:15]
	v_cndmask_b32_e32 v1, v15, v10, vcc
	v_cmp_ngt_f32_e32 vcc, s18, v2
	v_exp_f32_e32 v17, v17
	v_cvt_i32_f32_e32 v18, v19
	v_add_f32_e32 v10, v1, v0
	v_cndmask_b32_e32 v16, 0, v16, vcc
	v_cmp_nlt_f32_e32 vcc, s20, v2
	v_cndmask_b32_e64 v10, v0, v10, s[12:13]
	v_cndmask_b32_e32 v2, v15, v16, vcc
	v_add_f32_e32 v16, v10, v2
	v_sub_f32_e32 v4, v4, v8
	v_cndmask_b32_e64 v10, v10, v16, s[10:11]
	v_ldexp_f32 v16, v17, v18
	v_mul_f32_e32 v17, 0x3fb8aa3b, v4
	v_fma_f32 v18, v4, s16, -v17
	v_rndne_f32_e32 v19, v17
	v_fmac_f32_e32 v18, 0x32a5705f, v4
	v_sub_f32_e32 v17, v17, v19
	v_add_f32_e32 v17, v17, v18
	v_cmp_ngt_f32_e32 vcc, s18, v3
	v_exp_f32_e32 v17, v17
	v_cvt_i32_f32_e32 v18, v19
	v_cndmask_b32_e32 v16, 0, v16, vcc
	v_cmp_nlt_f32_e32 vcc, s20, v3
	v_cndmask_b32_e32 v3, v15, v16, vcc
	v_add_f32_e32 v16, v10, v3
	v_sub_f32_e32 v5, v5, v8
	v_cndmask_b32_e64 v10, v10, v16, s[8:9]
	v_ldexp_f32 v16, v17, v18
	v_mul_f32_e32 v17, 0x3fb8aa3b, v5
	v_fma_f32 v18, v5, s16, -v17
	v_rndne_f32_e32 v19, v17
	v_fmac_f32_e32 v18, 0x32a5705f, v5
	v_sub_f32_e32 v17, v17, v19
	v_add_f32_e32 v17, v17, v18
	v_cmp_ngt_f32_e32 vcc, s18, v4
	v_exp_f32_e32 v17, v17
	v_cvt_i32_f32_e32 v18, v19
	v_cndmask_b32_e32 v16, 0, v16, vcc
	v_cmp_nlt_f32_e32 vcc, s20, v4
	;; [unrolled: 16-line block ×3, first 2 shown]
	v_cndmask_b32_e32 v5, v15, v16, vcc
	v_sub_f32_e32 v7, v7, v8
	v_add_f32_e32 v16, v10, v5
	v_mul_f32_e32 v8, 0x3fb8aa3b, v7
	v_cndmask_b32_e64 v10, v10, v16, s[4:5]
	v_ldexp_f32 v16, v17, v18
	v_fma_f32 v17, v7, s16, -v8
	v_rndne_f32_e32 v18, v8
	v_fmac_f32_e32 v17, 0x32a5705f, v7
	v_sub_f32_e32 v8, v8, v18
	v_add_f32_e32 v8, v8, v17
	v_exp_f32_e32 v8, v8
	v_cvt_i32_f32_e32 v17, v18
	v_cmp_ngt_f32_e32 vcc, s18, v6
	v_cndmask_b32_e32 v16, 0, v16, vcc
	v_cmp_nlt_f32_e32 vcc, s20, v6
	v_cndmask_b32_e32 v6, v15, v16, vcc
	v_ldexp_f32 v8, v8, v17
	v_cmp_ngt_f32_e32 vcc, s18, v7
	v_add_f32_e32 v16, v10, v6
	v_cndmask_b32_e32 v8, 0, v8, vcc
	v_cmp_nlt_f32_e32 vcc, s20, v7
	v_cndmask_b32_e64 v10, v10, v16, s[2:3]
	v_cndmask_b32_e32 v7, v15, v8, vcc
	v_add_f32_e32 v8, v10, v7
	v_cndmask_b32_e64 v8, v10, v8, s[0:1]
	ds_bpermute_b32 v10, v11, v8
	v_cndmask_b32_e64 v1, 0, v1, s[12:13]
	v_cndmask_b32_e64 v2, 0, v2, s[10:11]
	;; [unrolled: 1-line block ×4, first 2 shown]
	s_waitcnt lgkmcnt(0)
	v_add_f32_e32 v8, v8, v10
	ds_bpermute_b32 v10, v12, v8
	v_cndmask_b32_e64 v5, 0, v5, s[4:5]
	v_cndmask_b32_e64 v6, 0, v6, s[2:3]
	;; [unrolled: 1-line block ×3, first 2 shown]
	s_waitcnt lgkmcnt(0)
	v_add_f32_e32 v8, v8, v10
	ds_bpermute_b32 v10, v13, v8
	s_waitcnt lgkmcnt(0)
	v_add_f32_e32 v8, v8, v10
	ds_bpermute_b32 v10, v14, v8
	s_waitcnt lgkmcnt(0)
	v_add_f32_e32 v8, v8, v10
	ds_bpermute_b32 v9, v9, v8
	s_waitcnt lgkmcnt(0)
	v_add_f32_e32 v8, v8, v9
	v_div_scale_f32 v9, s[20:21], v8, v8, 1.0
	v_rcp_f32_e32 v10, v9
	v_fma_f32 v11, -v9, v10, 1.0
	v_fmac_f32_e32 v10, v11, v10
	v_div_scale_f32 v11, vcc, 1.0, v8, 1.0
	v_mul_f32_e32 v12, v11, v10
	v_fma_f32 v13, -v9, v12, v11
	v_fmac_f32_e32 v12, v13, v10
	v_fma_f32 v9, -v9, v12, v11
	v_div_fmas_f32 v9, v9, v10, v12
	v_div_fixup_f32 v8, v9, v8, 1.0
	v_mul_f32_e32 v9, v0, v8
	v_cndmask_b32_e64 v0, v0, v9, s[14:15]
	v_mul_f32_e32 v9, v1, v8
	v_cndmask_b32_e64 v1, v1, v9, s[12:13]
	;; [unrolled: 2-line block ×6, first 2 shown]
	v_mul_f32_e32 v9, v6, v8
	v_mul_f32_e32 v8, v7, v8
	v_cndmask_b32_e64 v6, v6, v9, s[2:3]
	v_cndmask_b32_e64 v7, v7, v8, s[0:1]
.LBB19_41:
	v_mul_lo_u32 v8, v21, s17
	v_ashrrev_i32_e32 v9, 31, v8
	v_lshlrev_b64 v[8:9], 2, v[8:9]
	s_waitcnt vmcnt(5)
	v_mov_b32_e32 v10, s23
	v_add_co_u32_e32 v8, vcc, s22, v8
	v_addc_co_u32_e32 v9, vcc, v10, v9, vcc
	v_cmp_gt_i32_e32 vcc, s17, v22
	s_and_saveexec_b64 s[0:1], vcc
	s_cbranch_execnz .LBB19_51
; %bb.42:
	s_or_b64 exec, exec, s[0:1]
	v_cmp_gt_i32_e32 vcc, s17, v29
	s_and_saveexec_b64 s[0:1], vcc
	s_cbranch_execnz .LBB19_52
.LBB19_43:
	s_or_b64 exec, exec, s[0:1]
	v_cmp_gt_i32_e32 vcc, s17, v28
	s_and_saveexec_b64 s[0:1], vcc
	s_cbranch_execnz .LBB19_53
.LBB19_44:
	s_or_b64 exec, exec, s[0:1]
	v_cmp_gt_i32_e32 vcc, s17, v27
	s_and_saveexec_b64 s[0:1], vcc
	s_cbranch_execnz .LBB19_54
.LBB19_45:
	s_or_b64 exec, exec, s[0:1]
	v_cmp_gt_i32_e32 vcc, s17, v26
	s_and_saveexec_b64 s[0:1], vcc
	s_cbranch_execnz .LBB19_55
.LBB19_46:
	s_or_b64 exec, exec, s[0:1]
	v_cmp_gt_i32_e32 vcc, s17, v25
	s_and_saveexec_b64 s[0:1], vcc
	s_cbranch_execnz .LBB19_56
.LBB19_47:
	s_or_b64 exec, exec, s[0:1]
	v_cmp_gt_i32_e32 vcc, s17, v24
	s_and_saveexec_b64 s[0:1], vcc
	s_cbranch_execnz .LBB19_57
.LBB19_48:
	s_or_b64 exec, exec, s[0:1]
	v_cmp_gt_i32_e32 vcc, s17, v23
	s_and_b64 exec, exec, vcc
	s_cbranch_execz .LBB19_50
.LBB19_49:
	v_add_co_u32_e32 v0, vcc, v8, v20
	v_addc_co_u32_e32 v1, vcc, 0, v9, vcc
	v_mul_f32_e32 v2, s19, v7
	global_store_dword v[0:1], v2, off offset:896
.LBB19_50:
	s_endpgm
.LBB19_51:
	v_add_co_u32_e32 v10, vcc, v8, v20
	s_waitcnt vmcnt(4)
	v_addc_co_u32_e32 v11, vcc, 0, v9, vcc
	v_mul_f32_e32 v0, s19, v0
	global_store_dword v[10:11], v0, off
	s_or_b64 exec, exec, s[0:1]
	v_cmp_gt_i32_e32 vcc, s17, v29
	s_and_saveexec_b64 s[0:1], vcc
	s_cbranch_execz .LBB19_43
.LBB19_52:
	v_add_co_u32_e32 v10, vcc, v8, v20
	s_waitcnt vmcnt(4)
	v_addc_co_u32_e32 v11, vcc, 0, v9, vcc
	v_mul_f32_e32 v0, s19, v1
	global_store_dword v[10:11], v0, off offset:128
	s_or_b64 exec, exec, s[0:1]
	v_cmp_gt_i32_e32 vcc, s17, v28
	s_and_saveexec_b64 s[0:1], vcc
	s_cbranch_execz .LBB19_44
.LBB19_53:
	v_add_co_u32_e32 v0, vcc, v8, v20
	v_addc_co_u32_e32 v1, vcc, 0, v9, vcc
	v_mul_f32_e32 v2, s19, v2
	global_store_dword v[0:1], v2, off offset:256
	s_or_b64 exec, exec, s[0:1]
	v_cmp_gt_i32_e32 vcc, s17, v27
	s_and_saveexec_b64 s[0:1], vcc
	s_cbranch_execz .LBB19_45
.LBB19_54:
	v_add_co_u32_e32 v0, vcc, v8, v20
	v_addc_co_u32_e32 v1, vcc, 0, v9, vcc
	v_mul_f32_e32 v2, s19, v3
	global_store_dword v[0:1], v2, off offset:384
	s_or_b64 exec, exec, s[0:1]
	v_cmp_gt_i32_e32 vcc, s17, v26
	s_and_saveexec_b64 s[0:1], vcc
	s_cbranch_execz .LBB19_46
.LBB19_55:
	v_add_co_u32_e32 v0, vcc, v8, v20
	v_addc_co_u32_e32 v1, vcc, 0, v9, vcc
	v_mul_f32_e32 v2, s19, v4
	global_store_dword v[0:1], v2, off offset:512
	s_or_b64 exec, exec, s[0:1]
	v_cmp_gt_i32_e32 vcc, s17, v25
	s_and_saveexec_b64 s[0:1], vcc
	s_cbranch_execz .LBB19_47
.LBB19_56:
	v_add_co_u32_e32 v0, vcc, v8, v20
	v_addc_co_u32_e32 v1, vcc, 0, v9, vcc
	v_mul_f32_e32 v2, s19, v5
	global_store_dword v[0:1], v2, off offset:640
	s_or_b64 exec, exec, s[0:1]
	v_cmp_gt_i32_e32 vcc, s17, v24
	s_and_saveexec_b64 s[0:1], vcc
	s_cbranch_execz .LBB19_48
.LBB19_57:
	v_add_co_u32_e32 v0, vcc, v8, v20
	v_addc_co_u32_e32 v1, vcc, 0, v9, vcc
	v_mul_f32_e32 v2, s19, v6
	global_store_dword v[0:1], v2, off offset:768
	s_or_b64 exec, exec, s[0:1]
	v_cmp_gt_i32_e32 vcc, s17, v23
	s_and_b64 exec, exec, vcc
	s_cbranch_execnz .LBB19_49
	s_branch .LBB19_50
	.section	.rodata,"a",@progbits
	.p2align	6, 0x0
	.amdhsa_kernel _Z13topk_moe_cudaILi256ELb0EEvPKfPfPiS2_iiff15topk_moe_config
		.amdhsa_group_segment_fixed_size 0
		.amdhsa_private_segment_fixed_size 0
		.amdhsa_kernarg_size 312
		.amdhsa_user_sgpr_count 6
		.amdhsa_user_sgpr_private_segment_buffer 1
		.amdhsa_user_sgpr_dispatch_ptr 0
		.amdhsa_user_sgpr_queue_ptr 0
		.amdhsa_user_sgpr_kernarg_segment_ptr 1
		.amdhsa_user_sgpr_dispatch_id 0
		.amdhsa_user_sgpr_flat_scratch_init 0
		.amdhsa_user_sgpr_kernarg_preload_length 0
		.amdhsa_user_sgpr_kernarg_preload_offset 0
		.amdhsa_user_sgpr_private_segment_size 0
		.amdhsa_uses_dynamic_stack 0
		.amdhsa_system_sgpr_private_segment_wavefront_offset 0
		.amdhsa_system_sgpr_workgroup_id_x 1
		.amdhsa_system_sgpr_workgroup_id_y 0
		.amdhsa_system_sgpr_workgroup_id_z 0
		.amdhsa_system_sgpr_workgroup_info 0
		.amdhsa_system_vgpr_workitem_id 1
		.amdhsa_next_free_vgpr 40
		.amdhsa_next_free_sgpr 28
		.amdhsa_accum_offset 40
		.amdhsa_reserve_vcc 1
		.amdhsa_reserve_flat_scratch 0
		.amdhsa_float_round_mode_32 0
		.amdhsa_float_round_mode_16_64 0
		.amdhsa_float_denorm_mode_32 3
		.amdhsa_float_denorm_mode_16_64 3
		.amdhsa_dx10_clamp 1
		.amdhsa_ieee_mode 1
		.amdhsa_fp16_overflow 0
		.amdhsa_tg_split 0
		.amdhsa_exception_fp_ieee_invalid_op 0
		.amdhsa_exception_fp_denorm_src 0
		.amdhsa_exception_fp_ieee_div_zero 0
		.amdhsa_exception_fp_ieee_overflow 0
		.amdhsa_exception_fp_ieee_underflow 0
		.amdhsa_exception_fp_ieee_inexact 0
		.amdhsa_exception_int_div_zero 0
	.end_amdhsa_kernel
	.section	.text._Z13topk_moe_cudaILi256ELb0EEvPKfPfPiS2_iiff15topk_moe_config,"axG",@progbits,_Z13topk_moe_cudaILi256ELb0EEvPKfPfPiS2_iiff15topk_moe_config,comdat
.Lfunc_end19:
	.size	_Z13topk_moe_cudaILi256ELb0EEvPKfPfPiS2_iiff15topk_moe_config, .Lfunc_end19-_Z13topk_moe_cudaILi256ELb0EEvPKfPfPiS2_iiff15topk_moe_config
                                        ; -- End function
	.section	.AMDGPU.csdata,"",@progbits
; Kernel info:
; codeLenInByte = 6424
; NumSgprs: 32
; NumVgprs: 40
; NumAgprs: 0
; TotalNumVgprs: 40
; ScratchSize: 0
; MemoryBound: 0
; FloatMode: 240
; IeeeMode: 1
; LDSByteSize: 0 bytes/workgroup (compile time only)
; SGPRBlocks: 3
; VGPRBlocks: 4
; NumSGPRsForWavesPerEU: 32
; NumVGPRsForWavesPerEU: 40
; AccumOffset: 40
; Occupancy: 8
; WaveLimiterHint : 1
; COMPUTE_PGM_RSRC2:SCRATCH_EN: 0
; COMPUTE_PGM_RSRC2:USER_SGPR: 6
; COMPUTE_PGM_RSRC2:TRAP_HANDLER: 0
; COMPUTE_PGM_RSRC2:TGID_X_EN: 1
; COMPUTE_PGM_RSRC2:TGID_Y_EN: 0
; COMPUTE_PGM_RSRC2:TGID_Z_EN: 0
; COMPUTE_PGM_RSRC2:TIDIG_COMP_CNT: 1
; COMPUTE_PGM_RSRC3_GFX90A:ACCUM_OFFSET: 9
; COMPUTE_PGM_RSRC3_GFX90A:TG_SPLIT: 0
	.section	.text._Z13topk_moe_cudaILi512ELb0EEvPKfPfPiS2_iiff15topk_moe_config,"axG",@progbits,_Z13topk_moe_cudaILi512ELb0EEvPKfPfPiS2_iiff15topk_moe_config,comdat
	.protected	_Z13topk_moe_cudaILi512ELb0EEvPKfPfPiS2_iiff15topk_moe_config ; -- Begin function _Z13topk_moe_cudaILi512ELb0EEvPKfPfPiS2_iiff15topk_moe_config
	.globl	_Z13topk_moe_cudaILi512ELb0EEvPKfPfPiS2_iiff15topk_moe_config
	.p2align	8
	.type	_Z13topk_moe_cudaILi512ELb0EEvPKfPfPiS2_iiff15topk_moe_config,@function
_Z13topk_moe_cudaILi512ELb0EEvPKfPfPiS2_iiff15topk_moe_config: ; @_Z13topk_moe_cudaILi512ELb0EEvPKfPfPiS2_iiff15topk_moe_config
; %bb.0:
	s_load_dword s0, s[4:5], 0x44
	s_load_dwordx4 s[36:39], s[4:5], 0x20
	v_bfe_u32 v1, v0, 10, 10
	s_waitcnt lgkmcnt(0)
	s_lshr_b32 s0, s0, 16
	s_mul_i32 s6, s6, s0
	v_add_u32_e32 v51, s6, v1
	v_cmp_gt_i32_e32 vcc, s36, v51
	s_and_saveexec_b64 s[0:1], vcc
	s_cbranch_execz .LBB20_58
; %bb.1:
	s_load_dwordx4 s[40:43], s[4:5], 0x0
	s_load_dwordx2 s[16:17], s[4:5], 0x10
	v_lshlrev_b32_e32 v2, 9, v51
	v_ashrrev_i32_e32 v3, 31, v2
	v_mov_b32_e32 v1, 0
	v_lshlrev_b64 v[16:17], 2, v[2:3]
	global_load_ushort v36, v1, s[4:5] offset:48
	s_load_dword s0, s[4:5], 0x30
	s_waitcnt lgkmcnt(0)
	v_mov_b32_e32 v1, s41
	v_add_co_u32_e32 v2, vcc, s40, v16
	v_and_b32_e32 v52, 0x3ff, v0
	v_addc_co_u32_e32 v1, vcc, v1, v17, vcc
	v_lshlrev_b32_e32 v50, 2, v52
	v_add_co_u32_e32 v0, vcc, v2, v50
	v_addc_co_u32_e32 v1, vcc, 0, v1, vcc
	global_load_dword v32, v[0:1], off
	global_load_dword v33, v[0:1], off offset:128
	global_load_dword v18, v[0:1], off offset:256
	;; [unrolled: 1-line block ×15, first 2 shown]
	s_bitcmp1_b32 s0, 16
	s_cselect_b64 s[34:35], -1, 0
	s_and_b64 vcc, exec, s[34:35]
	s_cbranch_vccnz .LBB20_7
; %bb.2:
	s_waitcnt vmcnt(16)
	v_and_b32_e32 v0, 1, v36
	v_cmp_eq_u32_e32 vcc, 0, v0
	s_cbranch_vccz .LBB20_4
; %bb.3:
	s_mov_b32 s0, 0xff800000
	s_waitcnt vmcnt(14)
	v_max3_f32 v0, v32, s0, v33
	s_waitcnt vmcnt(12)
	v_max3_f32 v0, v0, v18, v19
	v_mbcnt_lo_u32_b32 v1, -1, 0
	s_waitcnt vmcnt(10)
	v_max3_f32 v0, v0, v20, v21
	v_mbcnt_hi_u32_b32 v1, -1, v1
	s_waitcnt vmcnt(8)
	v_max3_f32 v0, v0, v22, v23
	v_and_b32_e32 v2, 0x60, v1
	s_waitcnt vmcnt(6)
	v_max3_f32 v0, v0, v24, v25
	v_add_u32_e32 v2, 32, v2
	v_xor_b32_e32 v3, 16, v1
	s_waitcnt vmcnt(4)
	v_max3_f32 v0, v0, v26, v27
	v_cmp_lt_i32_e32 vcc, v3, v2
	s_waitcnt vmcnt(2)
	v_max3_f32 v0, v0, v28, v29
	v_cndmask_b32_e32 v3, v1, v3, vcc
	s_waitcnt vmcnt(0)
	v_max3_f32 v0, v0, v30, v31
	v_lshlrev_b32_e32 v37, 2, v3
	ds_bpermute_b32 v3, v37, v0
	s_mov_b32 s2, 0x3fb8aa3b
	s_mov_b32 s0, 0xc2ce8ed0
	;; [unrolled: 1-line block ×3, first 2 shown]
	v_mov_b32_e32 v42, 0x7f800000
	s_waitcnt lgkmcnt(0)
	v_max_f32_e32 v3, v3, v3
	v_max_f32_e32 v0, v0, v3
	v_xor_b32_e32 v3, 8, v1
	v_cmp_lt_i32_e32 vcc, v3, v2
	v_cndmask_b32_e32 v3, v1, v3, vcc
	v_lshlrev_b32_e32 v38, 2, v3
	ds_bpermute_b32 v3, v38, v0
	s_waitcnt lgkmcnt(0)
	v_max_f32_e32 v3, v3, v3
	v_max_f32_e32 v0, v0, v3
	v_xor_b32_e32 v3, 4, v1
	v_cmp_lt_i32_e32 vcc, v3, v2
	v_cndmask_b32_e32 v3, v1, v3, vcc
	v_lshlrev_b32_e32 v39, 2, v3
	ds_bpermute_b32 v3, v39, v0
	;; [unrolled: 8-line block ×4, first 2 shown]
	s_waitcnt lgkmcnt(0)
	v_max_f32_e32 v1, v1, v1
	v_max_f32_e32 v4, v0, v1
	v_pk_add_f32 v[0:1], v[32:33], v[4:5] op_sel_hi:[1,0] neg_lo:[0,1] neg_hi:[0,1]
	v_mul_f32_e32 v2, 0x3fb8aa3b, v1
	v_fma_f32 v3, v1, s2, -v2
	v_rndne_f32_e32 v5, v2
	v_fmac_f32_e32 v3, 0x32a5705f, v1
	v_sub_f32_e32 v2, v2, v5
	v_add_f32_e32 v2, v2, v3
	v_exp_f32_e32 v2, v2
	v_cvt_i32_f32_e32 v3, v5
	v_cmp_ngt_f32_e32 vcc, s0, v1
	v_ldexp_f32 v2, v2, v3
	v_mul_f32_e32 v3, 0x3fb8aa3b, v0
	v_fma_f32 v5, v0, s2, -v3
	v_rndne_f32_e32 v6, v3
	v_fmac_f32_e32 v5, 0x32a5705f, v0
	v_sub_f32_e32 v3, v3, v6
	v_add_f32_e32 v3, v3, v5
	v_exp_f32_e32 v3, v3
	v_cvt_i32_f32_e32 v5, v6
	v_cndmask_b32_e32 v2, 0, v2, vcc
	v_cmp_nlt_f32_e32 vcc, s1, v1
	v_cndmask_b32_e32 v1, v42, v2, vcc
	v_ldexp_f32 v5, v3, v5
	v_pk_add_f32 v[2:3], v[18:19], v[4:5] op_sel_hi:[1,0] neg_lo:[0,1] neg_hi:[0,1]
	v_mul_f32_e32 v6, 0x3fb8aa3b, v3
	v_fma_f32 v7, v3, s2, -v6
	v_rndne_f32_e32 v8, v6
	v_fmac_f32_e32 v7, 0x32a5705f, v3
	v_sub_f32_e32 v6, v6, v8
	v_add_f32_e32 v6, v6, v7
	v_exp_f32_e32 v6, v6
	v_cvt_i32_f32_e32 v7, v8
	v_cmp_ngt_f32_e32 vcc, s0, v0
	v_cndmask_b32_e32 v5, 0, v5, vcc
	v_cmp_nlt_f32_e32 vcc, s1, v0
	v_cndmask_b32_e32 v0, v42, v5, vcc
	v_ldexp_f32 v5, v6, v7
	v_mul_f32_e32 v6, 0x3fb8aa3b, v2
	v_fma_f32 v7, v2, s2, -v6
	v_rndne_f32_e32 v8, v6
	v_fmac_f32_e32 v7, 0x32a5705f, v2
	v_sub_f32_e32 v6, v6, v8
	v_add_f32_e32 v6, v6, v7
	v_exp_f32_e32 v6, v6
	v_cvt_i32_f32_e32 v7, v8
	v_cmp_ngt_f32_e32 vcc, s0, v3
	v_cndmask_b32_e32 v5, 0, v5, vcc
	v_cmp_nlt_f32_e32 vcc, s1, v3
	v_cndmask_b32_e32 v3, v42, v5, vcc
	v_ldexp_f32 v5, v6, v7
	v_pk_add_f32 v[6:7], v[20:21], v[4:5] op_sel_hi:[1,0] neg_lo:[0,1] neg_hi:[0,1]
	v_mul_f32_e32 v8, 0x3fb8aa3b, v7
	v_fma_f32 v9, v7, s2, -v8
	v_rndne_f32_e32 v10, v8
	v_fmac_f32_e32 v9, 0x32a5705f, v7
	v_sub_f32_e32 v8, v8, v10
	v_add_f32_e32 v8, v8, v9
	v_exp_f32_e32 v8, v8
	v_cvt_i32_f32_e32 v9, v10
	v_cmp_ngt_f32_e32 vcc, s0, v2
	v_cndmask_b32_e32 v5, 0, v5, vcc
	v_cmp_nlt_f32_e32 vcc, s1, v2
	v_cndmask_b32_e32 v2, v42, v5, vcc
	v_ldexp_f32 v5, v8, v9
	v_mul_f32_e32 v8, 0x3fb8aa3b, v6
	v_fma_f32 v9, v6, s2, -v8
	v_rndne_f32_e32 v10, v8
	v_fmac_f32_e32 v9, 0x32a5705f, v6
	v_sub_f32_e32 v8, v8, v10
	v_add_f32_e32 v8, v8, v9
	v_exp_f32_e32 v8, v8
	v_cvt_i32_f32_e32 v9, v10
	v_cmp_ngt_f32_e32 vcc, s0, v7
	;; [unrolled: 27-line block ×4, first 2 shown]
	v_cndmask_b32_e32 v5, 0, v5, vcc
	v_cmp_nlt_f32_e32 vcc, s1, v11
	v_cndmask_b32_e32 v13, v42, v5, vcc
	v_ldexp_f32 v5, v12, v14
	v_pk_add_f32 v[14:15], v[26:27], v[4:5] op_sel_hi:[1,0] neg_lo:[0,1] neg_hi:[0,1]
	v_mul_f32_e32 v11, 0x3fb8aa3b, v15
	v_fma_f32 v12, v15, s2, -v11
	v_rndne_f32_e32 v34, v11
	v_fmac_f32_e32 v12, 0x32a5705f, v15
	v_sub_f32_e32 v11, v11, v34
	v_add_f32_e32 v11, v11, v12
	v_exp_f32_e32 v11, v11
	v_cvt_i32_f32_e32 v34, v34
	v_cmp_ngt_f32_e32 vcc, s0, v10
	v_cndmask_b32_e32 v5, 0, v5, vcc
	v_cmp_nlt_f32_e32 vcc, s1, v10
	v_mul_f32_e32 v10, 0x3fb8aa3b, v14
	v_cndmask_b32_e32 v12, v42, v5, vcc
	v_ldexp_f32 v5, v11, v34
	v_fma_f32 v11, v14, s2, -v10
	v_rndne_f32_e32 v34, v10
	v_fmac_f32_e32 v11, 0x32a5705f, v14
	v_sub_f32_e32 v10, v10, v34
	v_add_f32_e32 v10, v10, v11
	v_exp_f32_e32 v10, v10
	v_cvt_i32_f32_e32 v11, v34
	v_cmp_ngt_f32_e32 vcc, s0, v15
	v_cndmask_b32_e32 v5, 0, v5, vcc
	v_cmp_nlt_f32_e32 vcc, s1, v15
	v_cndmask_b32_e32 v15, v42, v5, vcc
	v_ldexp_f32 v5, v10, v11
	v_pk_add_f32 v[10:11], v[28:29], v[4:5] op_sel_hi:[1,0] neg_lo:[0,1] neg_hi:[0,1]
	v_mul_f32_e32 v34, 0x3fb8aa3b, v11
	v_fma_f32 v35, v11, s2, -v34
	v_rndne_f32_e32 v43, v34
	v_fmac_f32_e32 v35, 0x32a5705f, v11
	v_sub_f32_e32 v34, v34, v43
	v_add_f32_e32 v34, v34, v35
	v_exp_f32_e32 v34, v34
	v_cvt_i32_f32_e32 v35, v43
	v_cmp_ngt_f32_e32 vcc, s0, v14
	v_cndmask_b32_e32 v5, 0, v5, vcc
	v_cmp_nlt_f32_e32 vcc, s1, v14
	v_cndmask_b32_e32 v14, v42, v5, vcc
	v_ldexp_f32 v5, v34, v35
	v_mul_f32_e32 v34, 0x3fb8aa3b, v10
	v_fma_f32 v35, v10, s2, -v34
	v_rndne_f32_e32 v43, v34
	v_fmac_f32_e32 v35, 0x32a5705f, v10
	v_sub_f32_e32 v34, v34, v43
	v_add_f32_e32 v34, v34, v35
	v_exp_f32_e32 v34, v34
	v_cvt_i32_f32_e32 v35, v43
	v_cmp_ngt_f32_e32 vcc, s0, v11
	v_cndmask_b32_e32 v5, 0, v5, vcc
	v_cmp_nlt_f32_e32 vcc, s1, v11
	v_cndmask_b32_e32 v5, v42, v5, vcc
	v_ldexp_f32 v11, v34, v35
	v_pk_add_f32 v[34:35], v[30:31], v[4:5] op_sel_hi:[1,0] neg_lo:[0,1] neg_hi:[0,1]
	v_mul_f32_e32 v4, 0x3fb8aa3b, v35
	v_fma_f32 v43, v35, s2, -v4
	v_rndne_f32_e32 v44, v4
	v_fmac_f32_e32 v43, 0x32a5705f, v35
	v_sub_f32_e32 v4, v4, v44
	v_add_f32_e32 v4, v4, v43
	v_exp_f32_e32 v43, v4
	v_cvt_i32_f32_e32 v44, v44
	v_cmp_ngt_f32_e32 vcc, s0, v10
	v_cndmask_b32_e32 v4, 0, v11, vcc
	v_mul_f32_e32 v11, 0x3fb8aa3b, v34
	v_cmp_nlt_f32_e32 vcc, s1, v10
	v_ldexp_f32 v10, v43, v44
	v_fma_f32 v43, v34, s2, -v11
	v_rndne_f32_e32 v44, v11
	v_fmac_f32_e32 v43, 0x32a5705f, v34
	v_sub_f32_e32 v11, v11, v44
	v_add_f32_e32 v11, v11, v43
	v_exp_f32_e32 v43, v11
	v_cvt_i32_f32_e32 v44, v44
	v_cndmask_b32_e32 v4, v42, v4, vcc
	v_cmp_ngt_f32_e32 vcc, s0, v35
	v_cndmask_b32_e32 v10, 0, v10, vcc
	v_cmp_nlt_f32_e32 vcc, s1, v35
	v_cndmask_b32_e32 v11, v42, v10, vcc
	v_ldexp_f32 v10, v43, v44
	v_cmp_ngt_f32_e32 vcc, s0, v34
	v_cndmask_b32_e32 v10, 0, v10, vcc
	v_cmp_nlt_f32_e32 vcc, s1, v34
	v_add_f32_e32 v34, v0, v1
	v_add_f32_e32 v34, v2, v34
	;; [unrolled: 1-line block ×12, first 2 shown]
	v_cndmask_b32_e32 v10, v42, v10, vcc
	v_add_f32_e32 v34, v5, v34
	v_add_f32_e32 v34, v10, v34
	v_add_f32_e32 v34, v11, v34
	ds_bpermute_b32 v35, v37, v34
	s_waitcnt lgkmcnt(0)
	v_add_f32_e32 v34, v34, v35
	ds_bpermute_b32 v35, v38, v34
	s_waitcnt lgkmcnt(0)
	v_add_f32_e32 v34, v34, v35
	;; [unrolled: 3-line block ×5, first 2 shown]
	v_div_scale_f32 v35, s[0:1], v34, v34, 1.0
	v_rcp_f32_e32 v37, v35
	v_fma_f32 v38, -v35, v37, 1.0
	v_fmac_f32_e32 v37, v38, v37
	v_div_scale_f32 v38, vcc, 1.0, v34, 1.0
	v_mul_f32_e32 v39, v38, v37
	v_fma_f32 v40, -v35, v39, v38
	v_fmac_f32_e32 v39, v40, v37
	v_fma_f32 v35, -v35, v39, v38
	v_div_fmas_f32 v35, v35, v37, v39
	v_div_fixup_f32 v38, v35, v34, 1.0
	v_pk_mul_f32 v[34:35], v[10:11], v[38:39] op_sel_hi:[1,0]
	v_pk_mul_f32 v[10:11], v[4:5], v[38:39] op_sel_hi:[1,0]
	;; [unrolled: 1-line block ×8, first 2 shown]
	s_cbranch_execz .LBB20_5
	s_branch .LBB20_6
.LBB20_4:
                                        ; implicit-def: $vgpr35
                                        ; implicit-def: $vgpr11
                                        ; implicit-def: $vgpr15
                                        ; implicit-def: $vgpr13
                                        ; implicit-def: $vgpr9
                                        ; implicit-def: $vgpr5
                                        ; implicit-def: $vgpr3
                                        ; implicit-def: $vgpr1
.LBB20_5:
	s_waitcnt vmcnt(14)
	v_mul_f32_e32 v0, 0xbfb8aa3b, v33
	s_mov_b32 s0, 0xbfb8aa3b
	v_rndne_f32_e32 v1, v0
	v_sub_f32_e32 v2, v0, v1
	v_fma_f32 v0, v33, s0, -v0
	v_fmac_f32_e32 v0, 0xb2a5705f, v33
	v_add_f32_e32 v0, v2, v0
	v_exp_f32_e32 v0, v0
	v_cvt_i32_f32_e32 v1, v1
	s_mov_b32 s1, 0x42ce8ed0
	v_cmp_nlt_f32_e32 vcc, s1, v33
	s_mov_b32 s2, 0xc2b17218
	v_ldexp_f32 v0, v0, v1
	v_mul_f32_e32 v1, 0xbfb8aa3b, v32
	v_rndne_f32_e32 v2, v1
	v_sub_f32_e32 v3, v1, v2
	v_fma_f32 v1, v32, s0, -v1
	v_fmac_f32_e32 v1, 0xb2a5705f, v32
	v_add_f32_e32 v1, v3, v1
	v_exp_f32_e32 v3, v1
	v_cvt_i32_f32_e32 v2, v2
	v_cndmask_b32_e32 v0, 0, v0, vcc
	v_mov_b32_e32 v6, 0x7f800000
	v_cmp_ngt_f32_e32 vcc, s2, v33
	v_cndmask_b32_e32 v1, v6, v0, vcc
	v_ldexp_f32 v0, v3, v2
	s_waitcnt vmcnt(12)
	v_mul_f32_e32 v2, 0xbfb8aa3b, v19
	v_rndne_f32_e32 v3, v2
	v_sub_f32_e32 v4, v2, v3
	v_fma_f32 v2, v19, s0, -v2
	v_fmac_f32_e32 v2, 0xb2a5705f, v19
	v_add_f32_e32 v2, v4, v2
	v_exp_f32_e32 v2, v2
	v_cvt_i32_f32_e32 v3, v3
	v_cmp_nlt_f32_e32 vcc, s1, v32
	v_cndmask_b32_e32 v0, 0, v0, vcc
	v_cmp_ngt_f32_e32 vcc, s2, v32
	v_ldexp_f32 v2, v2, v3
	v_mul_f32_e32 v3, 0xbfb8aa3b, v18
	v_rndne_f32_e32 v4, v3
	v_sub_f32_e32 v5, v3, v4
	v_fma_f32 v3, v18, s0, -v3
	v_fmac_f32_e32 v3, 0xb2a5705f, v18
	v_add_f32_e32 v3, v5, v3
	v_exp_f32_e32 v5, v3
	v_cvt_i32_f32_e32 v4, v4
	v_cndmask_b32_e32 v0, v6, v0, vcc
	v_cmp_nlt_f32_e32 vcc, s1, v19
	v_cndmask_b32_e32 v2, 0, v2, vcc
	v_cmp_ngt_f32_e32 vcc, s2, v19
	v_cndmask_b32_e32 v3, v6, v2, vcc
	v_ldexp_f32 v2, v5, v4
	s_waitcnt vmcnt(10)
	v_mul_f32_e32 v4, 0xbfb8aa3b, v21
	v_rndne_f32_e32 v5, v4
	v_sub_f32_e32 v7, v4, v5
	v_fma_f32 v4, v21, s0, -v4
	v_fmac_f32_e32 v4, 0xb2a5705f, v21
	v_add_f32_e32 v4, v7, v4
	v_exp_f32_e32 v4, v4
	v_cvt_i32_f32_e32 v5, v5
	v_cmp_nlt_f32_e32 vcc, s1, v18
	v_cndmask_b32_e32 v2, 0, v2, vcc
	v_cmp_ngt_f32_e32 vcc, s2, v18
	v_ldexp_f32 v4, v4, v5
	v_mul_f32_e32 v5, 0xbfb8aa3b, v20
	v_rndne_f32_e32 v7, v5
	v_sub_f32_e32 v8, v5, v7
	v_fma_f32 v5, v20, s0, -v5
	v_fmac_f32_e32 v5, 0xb2a5705f, v20
	v_add_f32_e32 v5, v8, v5
	v_exp_f32_e32 v8, v5
	v_cvt_i32_f32_e32 v7, v7
	v_cndmask_b32_e32 v2, v6, v2, vcc
	v_cmp_nlt_f32_e32 vcc, s1, v21
	v_cndmask_b32_e32 v4, 0, v4, vcc
	;; [unrolled: 27-line block ×3, first 2 shown]
	v_cmp_ngt_f32_e32 vcc, s2, v23
	v_cndmask_b32_e32 v9, v6, v7, vcc
	v_ldexp_f32 v7, v8, v10
	s_waitcnt vmcnt(6)
	v_mul_f32_e32 v8, 0xbfb8aa3b, v25
	v_rndne_f32_e32 v10, v8
	v_sub_f32_e32 v11, v8, v10
	v_fma_f32 v8, v25, s0, -v8
	v_fmac_f32_e32 v8, 0xb2a5705f, v25
	v_add_f32_e32 v8, v11, v8
	v_exp_f32_e32 v11, v8
	v_cvt_i32_f32_e32 v10, v10
	v_cmp_nlt_f32_e32 vcc, s1, v22
	v_cndmask_b32_e32 v7, 0, v7, vcc
	v_cmp_ngt_f32_e32 vcc, s2, v22
	v_cndmask_b32_e32 v8, v6, v7, vcc
	v_ldexp_f32 v7, v11, v10
	v_mul_f32_e32 v10, 0xbfb8aa3b, v24
	v_rndne_f32_e32 v11, v10
	v_sub_f32_e32 v12, v10, v11
	v_fma_f32 v10, v24, s0, -v10
	v_fmac_f32_e32 v10, 0xb2a5705f, v24
	v_add_f32_e32 v10, v12, v10
	v_exp_f32_e32 v10, v10
	v_cvt_i32_f32_e32 v11, v11
	v_cmp_nlt_f32_e32 vcc, s1, v25
	v_cndmask_b32_e32 v7, 0, v7, vcc
	v_cmp_ngt_f32_e32 vcc, s2, v25
	v_cndmask_b32_e32 v13, v6, v7, vcc
	v_ldexp_f32 v7, v10, v11
	s_waitcnt vmcnt(4)
	v_mul_f32_e32 v10, 0xbfb8aa3b, v27
	v_rndne_f32_e32 v11, v10
	v_sub_f32_e32 v12, v10, v11
	v_fma_f32 v10, v27, s0, -v10
	v_fmac_f32_e32 v10, 0xb2a5705f, v27
	v_add_f32_e32 v10, v12, v10
	v_exp_f32_e32 v10, v10
	v_cvt_i32_f32_e32 v11, v11
	v_cmp_nlt_f32_e32 vcc, s1, v24
	v_cndmask_b32_e32 v7, 0, v7, vcc
	v_cmp_ngt_f32_e32 vcc, s2, v24
	v_cndmask_b32_e32 v12, v6, v7, vcc
	v_ldexp_f32 v7, v10, v11
	v_mul_f32_e32 v10, 0xbfb8aa3b, v26
	v_rndne_f32_e32 v11, v10
	v_sub_f32_e32 v14, v10, v11
	v_fma_f32 v10, v26, s0, -v10
	v_fmac_f32_e32 v10, 0xb2a5705f, v26
	v_add_f32_e32 v10, v14, v10
	v_exp_f32_e32 v10, v10
	v_cvt_i32_f32_e32 v11, v11
	v_cmp_nlt_f32_e32 vcc, s1, v27
	v_cndmask_b32_e32 v7, 0, v7, vcc
	;; [unrolled: 27-line block ×4, first 2 shown]
	v_cmp_ngt_f32_e32 vcc, s2, v31
	v_cndmask_b32_e32 v7, v6, v7, vcc
	v_ldexp_f32 v18, v18, v19
	v_cmp_nlt_f32_e32 vcc, s1, v30
	v_cndmask_b32_e32 v18, 0, v18, vcc
	v_cmp_ngt_f32_e32 vcc, s2, v30
	v_pk_add_f32 v[0:1], v[0:1], 1.0 op_sel_hi:[1,0]
	v_cndmask_b32_e32 v6, v6, v18, vcc
	v_div_scale_f32 v18, s[0:1], v0, v0, 1.0
	v_rcp_f32_e32 v19, v18
	v_pk_add_f32 v[2:3], v[2:3], 1.0 op_sel_hi:[1,0]
	v_pk_add_f32 v[4:5], v[4:5], 1.0 op_sel_hi:[1,0]
	;; [unrolled: 1-line block ×3, first 2 shown]
	v_fma_f32 v20, -v18, v19, 1.0
	v_fmac_f32_e32 v19, v20, v19
	v_div_scale_f32 v20, vcc, 1.0, v0, 1.0
	v_mul_f32_e32 v21, v20, v19
	v_fma_f32 v22, -v18, v21, v20
	v_fmac_f32_e32 v21, v22, v19
	v_fma_f32 v18, -v18, v21, v20
	v_div_scale_f32 v20, s[0:1], v1, v1, 1.0
	v_rcp_f32_e32 v22, v20
	v_div_fmas_f32 v18, v18, v19, v21
	v_div_fixup_f32 v0, v18, v0, 1.0
	v_pk_add_f32 v[12:13], v[12:13], 1.0 op_sel_hi:[1,0]
	v_fma_f32 v18, -v20, v22, 1.0
	v_fmac_f32_e32 v22, v18, v22
	v_div_scale_f32 v18, vcc, 1.0, v1, 1.0
	v_mul_f32_e32 v19, v18, v22
	v_fma_f32 v21, -v20, v19, v18
	v_fmac_f32_e32 v19, v21, v22
	v_fma_f32 v18, -v20, v19, v18
	v_div_scale_f32 v20, s[0:1], v2, v2, 1.0
	v_rcp_f32_e32 v21, v20
	v_div_fmas_f32 v18, v18, v22, v19
	v_div_fixup_f32 v1, v18, v1, 1.0
	v_pk_add_f32 v[14:15], v[14:15], 1.0 op_sel_hi:[1,0]
	v_fma_f32 v18, -v20, v21, 1.0
	v_fmac_f32_e32 v21, v18, v21
	v_div_scale_f32 v18, vcc, 1.0, v2, 1.0
	v_mul_f32_e32 v19, v18, v21
	v_fma_f32 v22, -v20, v19, v18
	v_fmac_f32_e32 v19, v22, v21
	v_fma_f32 v18, -v20, v19, v18
	v_div_scale_f32 v20, s[0:1], v3, v3, 1.0
	v_rcp_f32_e32 v22, v20
	v_div_fmas_f32 v18, v18, v21, v19
	v_div_fixup_f32 v2, v18, v2, 1.0
	v_pk_add_f32 v[10:11], v[10:11], 1.0 op_sel_hi:[1,0]
	v_fma_f32 v18, -v20, v22, 1.0
	v_fmac_f32_e32 v22, v18, v22
	v_div_scale_f32 v18, vcc, 1.0, v3, 1.0
	v_mul_f32_e32 v19, v18, v22
	v_fma_f32 v21, -v20, v19, v18
	v_fmac_f32_e32 v19, v21, v22
	v_fma_f32 v18, -v20, v19, v18
	v_div_scale_f32 v20, s[0:1], v4, v4, 1.0
	v_rcp_f32_e32 v21, v20
	v_div_fmas_f32 v18, v18, v22, v19
	v_div_fixup_f32 v3, v18, v3, 1.0
	v_pk_add_f32 v[6:7], v[6:7], 1.0 op_sel_hi:[1,0]
	v_fma_f32 v18, -v20, v21, 1.0
	v_fmac_f32_e32 v21, v18, v21
	v_div_scale_f32 v18, vcc, 1.0, v4, 1.0
	v_mul_f32_e32 v19, v18, v21
	v_fma_f32 v22, -v20, v19, v18
	v_fmac_f32_e32 v19, v22, v21
	v_fma_f32 v18, -v20, v19, v18
	v_div_scale_f32 v20, s[0:1], v5, v5, 1.0
	v_rcp_f32_e32 v22, v20
	v_div_fmas_f32 v18, v18, v21, v19
	v_div_fixup_f32 v4, v18, v4, 1.0
	v_fma_f32 v18, -v20, v22, 1.0
	v_fmac_f32_e32 v22, v18, v22
	v_div_scale_f32 v18, vcc, 1.0, v5, 1.0
	v_mul_f32_e32 v19, v18, v22
	v_fma_f32 v21, -v20, v19, v18
	v_fmac_f32_e32 v19, v21, v22
	v_fma_f32 v18, -v20, v19, v18
	v_div_scale_f32 v20, s[0:1], v8, v8, 1.0
	v_rcp_f32_e32 v21, v20
	v_div_fmas_f32 v18, v18, v22, v19
	v_div_fixup_f32 v5, v18, v5, 1.0
	;; [unrolled: 11-line block ×11, first 2 shown]
	v_fma_f32 v6, -v20, v22, 1.0
	v_fmac_f32_e32 v22, v6, v22
	v_div_scale_f32 v6, vcc, 1.0, v7, 1.0
	v_mul_f32_e32 v18, v6, v22
	v_fma_f32 v19, -v20, v18, v6
	v_fmac_f32_e32 v18, v19, v22
	v_fma_f32 v6, -v20, v18, v6
	v_div_fmas_f32 v6, v6, v22, v18
	v_div_fixup_f32 v35, v6, v7, 1.0
.LBB20_6:
	s_waitcnt vmcnt(15)
	v_mov_b32_e32 v32, v0
	s_waitcnt vmcnt(14)
	v_mov_b32_e32 v33, v1
	;; [unrolled: 2-line block ×16, first 2 shown]
.LBB20_7:
	s_waitcnt vmcnt(16)
	v_lshrrev_b16_e32 v0, 8, v36
	s_cmp_gt_i32 s37, 0
	v_readfirstlane_b32 s24, v0
	s_cbranch_scc1 .LBB20_9
; %bb.8:
	s_mov_b32 s0, 0
	s_bitcmp1_b32 s24, 0
	s_mov_b32 s1, s0
	s_mov_b32 s2, s0
	;; [unrolled: 1-line block ×15, first 2 shown]
	s_mov_b64 s[18:19], 0
	s_cselect_b64 s[40:41], -1, 0
	s_branch .LBB20_10
.LBB20_9:
	s_mov_b64 s[18:19], -1
                                        ; implicit-def: $sgpr0
                                        ; implicit-def: $sgpr40_sgpr41
.LBB20_10:
	v_pk_mov_b32 v[0:1], s[0:1], s[0:1] op_sel:[0,1]
	v_add_u32_e32 v67, 32, v52
	v_add_u32_e32 v66, 64, v52
	;; [unrolled: 1-line block ×15, first 2 shown]
	s_andn2_b64 vcc, exec, s[18:19]
	v_mov_b32_e32 v69, s0
	v_pk_mov_b32 v[2:3], s[2:3], s[2:3] op_sel:[0,1]
	v_pk_mov_b32 v[4:5], s[4:5], s[4:5] op_sel:[0,1]
	;; [unrolled: 1-line block ×7, first 2 shown]
	v_mbcnt_lo_u32_b32 v68, -1, 0
	s_cbranch_vccnz .LBB20_37
; %bb.11:
	v_mov_b32_e32 v0, s17
	v_add_co_u32_e32 v48, vcc, s16, v16
	v_addc_co_u32_e32 v49, vcc, v0, v17, vcc
	v_mbcnt_hi_u32_b32 v0, -1, v68
	v_and_b32_e32 v1, 0x60, v0
	v_add_u32_e32 v1, 32, v1
	v_xor_b32_e32 v2, 16, v0
	s_bitcmp1_b32 s24, 0
	v_cmp_lt_i32_e64 s[24:25], v2, v1
	v_cndmask_b32_e64 v2, v0, v2, s[24:25]
	v_lshlrev_b32_e32 v70, 2, v2
	v_xor_b32_e32 v2, 8, v0
	v_cmp_lt_i32_e64 s[24:25], v2, v1
	v_cndmask_b32_e64 v2, v0, v2, s[24:25]
	v_lshlrev_b32_e32 v71, 2, v2
	v_xor_b32_e32 v2, 4, v0
	;; [unrolled: 4-line block ×4, first 2 shown]
	v_cmp_lt_i32_e64 s[24:25], v2, v1
	v_mov_b32_e32 v34, 0xff7fffff
	s_waitcnt vmcnt(15)
	v_cmp_o_f32_e32 vcc, v32, v32
	v_cndmask_b32_e64 v0, v0, v2, s[24:25]
	s_waitcnt vmcnt(14)
	v_cmp_o_f32_e64 s[24:25], v33, v33
	v_cndmask_b32_e32 v16, v34, v32, vcc
	s_waitcnt vmcnt(12)
	v_cmp_o_f32_e32 vcc, v19, v19
	s_waitcnt vmcnt(11)
	v_cmp_o_f32_e64 s[0:1], v20, v20
	s_waitcnt vmcnt(10)
	v_cmp_o_f32_e64 s[2:3], v21, v21
	;; [unrolled: 2-line block ×12, first 2 shown]
	v_mov_b32_e32 v69, 0
	v_cndmask_b32_e64 v17, v34, v33, s[24:25]
	v_cmp_o_f32_e64 s[24:25], v18, v18
	s_mov_b32 s33, 0
	s_cselect_b64 s[40:41], -1, 0
	v_lshlrev_b32_e32 v74, 2, v0
	v_mov_b32_e32 v75, 0xff800000
	v_mov_b32_e32 v0, 0
	;; [unrolled: 1-line block ×17, first 2 shown]
	v_cndmask_b32_e64 v18, v34, v18, s[24:25]
	v_cndmask_b32_e32 v19, v34, v19, vcc
	v_cndmask_b32_e64 v20, v34, v20, s[0:1]
	v_cndmask_b32_e64 v21, v34, v21, s[2:3]
	;; [unrolled: 1-line block ×12, first 2 shown]
	s_branch .LBB20_13
.LBB20_12:                              ;   in Loop: Header=BB20_13 Depth=1
	s_or_b64 exec, exec, s[0:1]
	s_and_b32 s0, s33, 31
	s_waitcnt lgkmcnt(0)
	v_pk_mov_b32 v[46:47], v[14:15], v[14:15] op_sel:[0,1]
	s_lshr_b32 s1, s33, 5
	v_pk_mov_b32 v[44:45], v[12:13], v[12:13] op_sel:[0,1]
	v_pk_mov_b32 v[42:43], v[10:11], v[10:11] op_sel:[0,1]
	;; [unrolled: 1-line block ×7, first 2 shown]
	v_cmp_eq_u32_e32 vcc, s0, v52
	s_set_gpr_idx_on s1, gpr_idx(DST)
	v_mov_b32_e32 v32, v76
	s_set_gpr_idx_off
	v_cndmask_b32_e32 v15, v15, v47, vcc
	v_cndmask_b32_e32 v14, v14, v46, vcc
	v_cndmask_b32_e32 v13, v13, v45, vcc
	v_cndmask_b32_e32 v12, v12, v44, vcc
	v_cndmask_b32_e32 v11, v11, v43, vcc
	v_cndmask_b32_e32 v10, v10, v42, vcc
	v_cndmask_b32_e32 v9, v9, v41, vcc
	v_cndmask_b32_e32 v8, v8, v40, vcc
	v_cndmask_b32_e32 v7, v7, v39, vcc
	v_cndmask_b32_e32 v6, v6, v38, vcc
	v_cndmask_b32_e32 v5, v5, v37, vcc
	v_cndmask_b32_e32 v4, v4, v36, vcc
	v_cndmask_b32_e32 v3, v3, v35, vcc
	v_cndmask_b32_e32 v2, v2, v34, vcc
	v_cndmask_b32_e32 v1, v1, v33, vcc
	v_cndmask_b32_e32 v0, v0, v32, vcc
	s_add_i32 s33, s33, 1
	v_add_co_u32_e32 v48, vcc, 4, v48
	s_cmp_eq_u32 s37, s33
	v_addc_co_u32_e32 v49, vcc, 0, v49, vcc
	s_cbranch_scc1 .LBB20_37
.LBB20_13:                              ; =>This Inner Loop Header: Depth=1
	v_cmp_gt_f32_e32 vcc, v17, v16
	v_cndmask_b32_e32 v32, v16, v17, vcc
	v_cmp_gt_f32_e64 s[0:1], v18, v32
	v_cndmask_b32_e64 v32, v32, v18, s[0:1]
	v_cndmask_b32_e32 v33, v52, v67, vcc
	v_cmp_gt_f32_e32 vcc, v19, v32
	v_cndmask_b32_e64 v33, v33, v66, s[0:1]
	v_cndmask_b32_e32 v32, v32, v19, vcc
	v_cndmask_b32_e32 v33, v33, v65, vcc
	v_cmp_gt_f32_e32 vcc, v20, v32
	v_cndmask_b32_e32 v32, v32, v20, vcc
	v_cndmask_b32_e32 v33, v33, v64, vcc
	v_cmp_gt_f32_e32 vcc, v21, v32
	;; [unrolled: 3-line block ×12, first 2 shown]
	v_cndmask_b32_e32 v76, v32, v31, vcc
	v_cndmask_b32_e32 v32, v33, v53, vcc
	ds_bpermute_b32 v33, v70, v76
	ds_bpermute_b32 v34, v70, v32
	s_waitcnt lgkmcnt(1)
	v_cmp_lt_f32_e64 s[2:3], v76, v33
	v_cmp_nlt_f32_e32 vcc, v76, v33
	s_and_saveexec_b64 s[4:5], vcc
	s_cbranch_execz .LBB20_15
; %bb.14:                               ;   in Loop: Header=BB20_13 Depth=1
	v_cmp_eq_f32_e32 vcc, v76, v33
	s_waitcnt lgkmcnt(0)
	v_cmp_lt_i32_e64 s[0:1], v34, v32
	s_and_b64 s[0:1], vcc, s[0:1]
	s_andn2_b64 s[2:3], s[2:3], exec
	s_and_b64 s[0:1], s[0:1], exec
	s_or_b64 s[2:3], s[2:3], s[0:1]
.LBB20_15:                              ;   in Loop: Header=BB20_13 Depth=1
	s_or_b64 exec, exec, s[4:5]
	s_and_saveexec_b64 s[0:1], s[2:3]
	s_cbranch_execz .LBB20_17
; %bb.16:                               ;   in Loop: Header=BB20_13 Depth=1
	v_mov_b32_e32 v76, v33
	s_waitcnt lgkmcnt(0)
	v_mov_b32_e32 v32, v34
.LBB20_17:                              ;   in Loop: Header=BB20_13 Depth=1
	s_or_b64 exec, exec, s[0:1]
	s_waitcnt lgkmcnt(0)
	ds_bpermute_b32 v34, v71, v76
	ds_bpermute_b32 v33, v71, v32
	s_waitcnt lgkmcnt(1)
	v_cmp_lt_f32_e64 s[2:3], v76, v34
	v_cmp_nlt_f32_e32 vcc, v76, v34
	s_and_saveexec_b64 s[4:5], vcc
	s_cbranch_execz .LBB20_19
; %bb.18:                               ;   in Loop: Header=BB20_13 Depth=1
	v_cmp_eq_f32_e32 vcc, v76, v34
	s_waitcnt lgkmcnt(0)
	v_cmp_lt_i32_e64 s[0:1], v33, v32
	s_and_b64 s[0:1], vcc, s[0:1]
	s_andn2_b64 s[2:3], s[2:3], exec
	s_and_b64 s[0:1], s[0:1], exec
	s_or_b64 s[2:3], s[2:3], s[0:1]
.LBB20_19:                              ;   in Loop: Header=BB20_13 Depth=1
	s_or_b64 exec, exec, s[4:5]
	s_and_saveexec_b64 s[0:1], s[2:3]
	s_cbranch_execz .LBB20_21
; %bb.20:                               ;   in Loop: Header=BB20_13 Depth=1
	v_mov_b32_e32 v76, v34
	s_waitcnt lgkmcnt(0)
	v_mov_b32_e32 v32, v33
.LBB20_21:                              ;   in Loop: Header=BB20_13 Depth=1
	s_or_b64 exec, exec, s[0:1]
	ds_bpermute_b32 v34, v72, v76
	s_waitcnt lgkmcnt(1)
	ds_bpermute_b32 v33, v72, v32
	s_waitcnt lgkmcnt(1)
	v_cmp_lt_f32_e64 s[2:3], v76, v34
	v_cmp_nlt_f32_e32 vcc, v76, v34
	s_and_saveexec_b64 s[4:5], vcc
	s_cbranch_execz .LBB20_23
; %bb.22:                               ;   in Loop: Header=BB20_13 Depth=1
	v_cmp_eq_f32_e32 vcc, v76, v34
	s_waitcnt lgkmcnt(0)
	v_cmp_lt_i32_e64 s[0:1], v33, v32
	s_and_b64 s[0:1], vcc, s[0:1]
	s_andn2_b64 s[2:3], s[2:3], exec
	s_and_b64 s[0:1], s[0:1], exec
	s_or_b64 s[2:3], s[2:3], s[0:1]
.LBB20_23:                              ;   in Loop: Header=BB20_13 Depth=1
	s_or_b64 exec, exec, s[4:5]
	s_and_saveexec_b64 s[0:1], s[2:3]
	s_cbranch_execz .LBB20_25
; %bb.24:                               ;   in Loop: Header=BB20_13 Depth=1
	v_mov_b32_e32 v76, v34
	s_waitcnt lgkmcnt(0)
	v_mov_b32_e32 v32, v33
.LBB20_25:                              ;   in Loop: Header=BB20_13 Depth=1
	s_or_b64 exec, exec, s[0:1]
	ds_bpermute_b32 v34, v73, v76
	s_waitcnt lgkmcnt(1)
	ds_bpermute_b32 v33, v73, v32
	s_waitcnt lgkmcnt(1)
	v_cmp_lt_f32_e64 s[2:3], v76, v34
	v_cmp_nlt_f32_e32 vcc, v76, v34
	s_and_saveexec_b64 s[4:5], vcc
	s_cbranch_execz .LBB20_27
; %bb.26:                               ;   in Loop: Header=BB20_13 Depth=1
	v_cmp_eq_f32_e32 vcc, v76, v34
	s_waitcnt lgkmcnt(0)
	v_cmp_lt_i32_e64 s[0:1], v33, v32
	s_and_b64 s[0:1], vcc, s[0:1]
	s_andn2_b64 s[2:3], s[2:3], exec
	s_and_b64 s[0:1], s[0:1], exec
	s_or_b64 s[2:3], s[2:3], s[0:1]
.LBB20_27:                              ;   in Loop: Header=BB20_13 Depth=1
	s_or_b64 exec, exec, s[4:5]
	s_and_saveexec_b64 s[0:1], s[2:3]
	s_cbranch_execz .LBB20_29
; %bb.28:                               ;   in Loop: Header=BB20_13 Depth=1
	v_mov_b32_e32 v76, v34
	s_waitcnt lgkmcnt(0)
	v_mov_b32_e32 v32, v33
.LBB20_29:                              ;   in Loop: Header=BB20_13 Depth=1
	s_or_b64 exec, exec, s[0:1]
	s_waitcnt lgkmcnt(0)
	ds_bpermute_b32 v33, v74, v76
	ds_bpermute_b32 v34, v74, v32
	s_waitcnt lgkmcnt(1)
	v_cmp_lt_f32_e64 s[2:3], v76, v33
	v_cmp_nlt_f32_e32 vcc, v76, v33
	s_and_saveexec_b64 s[4:5], vcc
	s_cbranch_execz .LBB20_31
; %bb.30:                               ;   in Loop: Header=BB20_13 Depth=1
	v_cmp_eq_f32_e32 vcc, v76, v33
	s_waitcnt lgkmcnt(0)
	v_cmp_lt_i32_e64 s[0:1], v34, v32
	s_and_b64 s[0:1], vcc, s[0:1]
	s_andn2_b64 s[2:3], s[2:3], exec
	s_and_b64 s[0:1], s[0:1], exec
	s_or_b64 s[2:3], s[2:3], s[0:1]
.LBB20_31:                              ;   in Loop: Header=BB20_13 Depth=1
	s_or_b64 exec, exec, s[4:5]
	s_and_saveexec_b64 s[0:1], s[2:3]
	s_cbranch_execz .LBB20_33
; %bb.32:                               ;   in Loop: Header=BB20_13 Depth=1
	v_mov_b32_e32 v76, v33
	s_waitcnt lgkmcnt(0)
	v_mov_b32_e32 v32, v34
.LBB20_33:                              ;   in Loop: Header=BB20_13 Depth=1
	s_or_b64 exec, exec, s[0:1]
	v_and_b32_e32 v33, 31, v32
	v_cmp_eq_u32_e32 vcc, v33, v52
	s_and_saveexec_b64 s[44:45], vcc
	s_cbranch_execz .LBB20_35
; %bb.34:                               ;   in Loop: Header=BB20_13 Depth=1
	v_ashrrev_i32_e32 v33, 31, v32
	v_lshrrev_b32_e32 v33, 27, v33
	v_add_u32_e32 v33, v32, v33
	v_ashrrev_i32_e32 v33, 5, v33
	v_cmp_ne_u32_e64 s[0:1], 14, v33
	v_cmp_ne_u32_e64 s[2:3], 13, v33
	;; [unrolled: 1-line block ×16, first 2 shown]
	v_cndmask_b32_e64 v31, v75, v31, s[30:31]
	v_cndmask_b32_e64 v30, v75, v30, s[0:1]
	;; [unrolled: 1-line block ×16, first 2 shown]
.LBB20_35:                              ;   in Loop: Header=BB20_13 Depth=1
	s_or_b64 exec, exec, s[44:45]
	s_and_saveexec_b64 s[0:1], vcc
	s_cbranch_execz .LBB20_12
; %bb.36:                               ;   in Loop: Header=BB20_13 Depth=1
	v_add_f32_e32 v33, v69, v76
	v_cndmask_b32_e64 v69, v69, v33, s[40:41]
	global_store_dword v[48:49], v32, off
	s_branch .LBB20_12
.LBB20_37:
	s_and_b64 vcc, exec, s[40:41]
	s_cbranch_vccz .LBB20_39
; %bb.38:
	v_mbcnt_hi_u32_b32 v16, -1, v68
	v_and_b32_e32 v17, 0x60, v16
	v_add_u32_e32 v17, 32, v17
	s_waitcnt vmcnt(13)
	v_xor_b32_e32 v18, 16, v16
	v_cmp_lt_i32_e32 vcc, v18, v17
	v_cndmask_b32_e32 v18, v16, v18, vcc
	v_lshlrev_b32_e32 v18, 2, v18
	ds_bpermute_b32 v18, v18, v69
	s_waitcnt vmcnt(12)
	v_xor_b32_e32 v19, 8, v16
	v_cmp_lt_i32_e32 vcc, v19, v17
	v_cndmask_b32_e32 v19, v16, v19, vcc
	v_lshlrev_b32_e32 v19, 2, v19
	s_waitcnt lgkmcnt(0)
	v_add_f32_e32 v18, v69, v18
	ds_bpermute_b32 v19, v19, v18
	s_waitcnt vmcnt(11)
	v_xor_b32_e32 v20, 4, v16
	v_cmp_lt_i32_e32 vcc, v20, v17
	s_waitcnt lgkmcnt(0)
	v_add_f32_e32 v18, v18, v19
	v_cndmask_b32_e32 v19, v16, v20, vcc
	v_lshlrev_b32_e32 v19, 2, v19
	ds_bpermute_b32 v19, v19, v18
	v_xor_b32_e32 v20, 2, v16
	v_cmp_lt_i32_e32 vcc, v20, v17
	s_waitcnt lgkmcnt(0)
	v_add_f32_e32 v18, v18, v19
	v_cndmask_b32_e32 v19, v16, v20, vcc
	v_lshlrev_b32_e32 v19, 2, v19
	ds_bpermute_b32 v19, v19, v18
	v_xor_b32_e32 v20, 1, v16
	v_cmp_lt_i32_e32 vcc, v20, v17
	v_cndmask_b32_e32 v16, v16, v20, vcc
	v_lshlrev_b32_e32 v16, 2, v16
	s_waitcnt lgkmcnt(0)
	v_add_f32_e32 v18, v18, v19
	ds_bpermute_b32 v16, v16, v18
	v_max_f32_e64 v17, s38, s38
	s_waitcnt lgkmcnt(0)
	v_add_f32_e32 v16, v18, v16
	v_max_f32_e32 v16, v16, v17
	v_div_scale_f32 v17, s[0:1], v16, v16, 1.0
	v_rcp_f32_e32 v18, v17
	v_div_scale_f32 v19, vcc, 1.0, v16, 1.0
	v_fma_f32 v20, -v17, v18, 1.0
	v_fmac_f32_e32 v18, v20, v18
	v_mul_f32_e32 v20, v19, v18
	s_waitcnt vmcnt(10)
	v_fma_f32 v21, -v17, v20, v19
	v_fmac_f32_e32 v20, v21, v18
	v_fma_f32 v17, -v17, v20, v19
	v_div_fmas_f32 v17, v17, v18, v20
	v_div_fixup_f32 v16, v17, v16, 1.0
	v_pk_mul_f32 v[14:15], v[16:17], v[14:15] op_sel_hi:[0,1]
	v_pk_mul_f32 v[12:13], v[16:17], v[12:13] op_sel_hi:[0,1]
	;; [unrolled: 1-line block ×8, first 2 shown]
.LBB20_39:
	s_andn2_b64 vcc, exec, s[34:35]
	v_cmp_gt_i32_e64 s[28:29], s37, v67
	v_cmp_gt_i32_e64 s[26:27], s37, v66
	;; [unrolled: 1-line block ×16, first 2 shown]
	s_cbranch_vccnz .LBB20_41
; %bb.40:
	v_max_f32_e32 v16, v0, v0
	v_max_f32_e32 v16, 0xff800000, v16
	v_mov_b32_e32 v17, 0xff800000
	v_cndmask_b32_e64 v16, v17, v16, s[30:31]
	v_max_f32_e32 v17, v1, v1
	v_max_f32_e32 v17, v16, v17
	v_cndmask_b32_e64 v16, v16, v17, s[28:29]
	v_max_f32_e32 v17, v2, v2
	v_max_f32_e32 v17, v16, v17
	;; [unrolled: 3-line block ×4, first 2 shown]
	v_cndmask_b32_e64 v16, v16, v17, s[22:23]
	v_max_f32_e32 v17, v16, v16
	s_waitcnt vmcnt(13)
	v_max_f32_e32 v18, v5, v5
	v_max_f32_e32 v17, v17, v18
	v_cndmask_b32_e64 v16, v16, v17, s[20:21]
	v_max_f32_e32 v17, v16, v16
	v_max_f32_e32 v18, v6, v6
	v_max_f32_e32 v17, v17, v18
	v_cndmask_b32_e64 v16, v16, v17, s[18:19]
	v_max_f32_e32 v17, v16, v16
	;; [unrolled: 4-line block ×10, first 2 shown]
	v_max_f32_e32 v18, v15, v15
	v_max_f32_e32 v17, v17, v18
	v_cndmask_b32_e64 v16, v16, v17, s[0:1]
	v_mbcnt_hi_u32_b32 v17, -1, v68
	v_and_b32_e32 v18, 0x60, v17
	v_add_u32_e32 v18, 32, v18
	s_waitcnt vmcnt(12)
	v_xor_b32_e32 v19, 16, v17
	v_cmp_lt_i32_e32 vcc, v19, v18
	v_cndmask_b32_e32 v19, v17, v19, vcc
	v_lshlrev_b32_e32 v19, 2, v19
	s_waitcnt vmcnt(11)
	ds_bpermute_b32 v20, v19, v16
	v_max_f32_e32 v16, v16, v16
	s_mov_b32 s35, 0x3fb8aa3b
	s_mov_b32 s33, 0xc2ce8ed0
	;; [unrolled: 1-line block ×3, first 2 shown]
	s_waitcnt lgkmcnt(0)
	v_max_f32_e32 v20, v20, v20
	v_max_f32_e32 v16, v16, v20
	v_xor_b32_e32 v20, 8, v17
	v_cmp_lt_i32_e32 vcc, v20, v18
	v_cndmask_b32_e32 v20, v17, v20, vcc
	v_lshlrev_b32_e32 v20, 2, v20
	s_waitcnt vmcnt(10)
	ds_bpermute_b32 v21, v20, v16
	s_waitcnt lgkmcnt(0)
	v_max_f32_e32 v21, v21, v21
	v_max_f32_e32 v16, v16, v21
	v_xor_b32_e32 v21, 4, v17
	v_cmp_lt_i32_e32 vcc, v21, v18
	v_cndmask_b32_e32 v21, v17, v21, vcc
	v_lshlrev_b32_e32 v21, 2, v21
	s_waitcnt vmcnt(9)
	ds_bpermute_b32 v22, v21, v16
	;; [unrolled: 9-line block ×3, first 2 shown]
	s_waitcnt lgkmcnt(0)
	v_max_f32_e32 v23, v23, v23
	v_max_f32_e32 v16, v16, v23
	v_xor_b32_e32 v23, 1, v17
	v_cmp_lt_i32_e32 vcc, v23, v18
	v_cndmask_b32_e32 v17, v17, v23, vcc
	v_lshlrev_b32_e32 v17, 2, v17
	ds_bpermute_b32 v18, v17, v16
	s_waitcnt lgkmcnt(0)
	v_max_f32_e32 v18, v18, v18
	v_max_f32_e32 v16, v16, v18
	v_sub_f32_e32 v0, v0, v16
	v_mul_f32_e32 v18, 0x3fb8aa3b, v0
	v_fma_f32 v23, v0, s35, -v18
	s_waitcnt vmcnt(7)
	v_rndne_f32_e32 v24, v18
	v_fmac_f32_e32 v23, 0x32a5705f, v0
	v_sub_f32_e32 v18, v18, v24
	v_sub_f32_e32 v1, v1, v16
	v_add_f32_e32 v18, v18, v23
	v_cvt_i32_f32_e32 v23, v24
	v_mul_f32_e32 v24, 0x3fb8aa3b, v1
	s_waitcnt vmcnt(6)
	v_fma_f32 v25, v1, s35, -v24
	s_waitcnt vmcnt(5)
	v_rndne_f32_e32 v26, v24
	v_exp_f32_e32 v18, v18
	v_fmac_f32_e32 v25, 0x32a5705f, v1
	v_sub_f32_e32 v24, v24, v26
	v_add_f32_e32 v24, v24, v25
	v_exp_f32_e32 v24, v24
	v_cvt_i32_f32_e32 v25, v26
	v_ldexp_f32 v18, v18, v23
	v_cmp_ngt_f32_e32 vcc, s33, v0
	v_cndmask_b32_e32 v18, 0, v18, vcc
	v_mov_b32_e32 v23, 0x7f800000
	v_cmp_nlt_f32_e32 vcc, s34, v0
	v_sub_f32_e32 v2, v2, v16
	v_cndmask_b32_e32 v0, v23, v18, vcc
	v_ldexp_f32 v18, v24, v25
	v_mul_f32_e32 v24, 0x3fb8aa3b, v2
	v_fma_f32 v25, v2, s35, -v24
	v_rndne_f32_e32 v26, v24
	v_fmac_f32_e32 v25, 0x32a5705f, v2
	v_sub_f32_e32 v24, v24, v26
	v_add_f32_e32 v24, v24, v25
	v_exp_f32_e32 v24, v24
	v_cvt_i32_f32_e32 v25, v26
	v_sub_f32_e32 v3, v3, v16
	v_cmp_ngt_f32_e32 vcc, s33, v1
	v_cndmask_b32_e32 v18, 0, v18, vcc
	v_ldexp_f32 v24, v24, v25
	v_mul_f32_e32 v25, 0x3fb8aa3b, v3
	v_fma_f32 v26, v3, s35, -v25
	s_waitcnt vmcnt(4)
	v_rndne_f32_e32 v27, v25
	v_fmac_f32_e32 v26, 0x32a5705f, v3
	v_sub_f32_e32 v25, v25, v27
	v_cmp_nlt_f32_e32 vcc, s34, v1
	v_add_f32_e32 v25, v25, v26
	v_cndmask_b32_e64 v0, 0, v0, s[30:31]
	v_cndmask_b32_e32 v1, v23, v18, vcc
	v_cmp_ngt_f32_e32 vcc, s33, v2
	v_exp_f32_e32 v25, v25
	v_cvt_i32_f32_e32 v26, v27
	v_add_f32_e32 v18, v1, v0
	v_cndmask_b32_e32 v24, 0, v24, vcc
	v_cmp_nlt_f32_e32 vcc, s34, v2
	v_cndmask_b32_e64 v18, v0, v18, s[28:29]
	v_cndmask_b32_e32 v2, v23, v24, vcc
	v_add_f32_e32 v24, v18, v2
	v_sub_f32_e32 v4, v4, v16
	v_cndmask_b32_e64 v18, v18, v24, s[26:27]
	v_ldexp_f32 v24, v25, v26
	v_mul_f32_e32 v25, 0x3fb8aa3b, v4
	v_fma_f32 v26, v4, s35, -v25
	v_rndne_f32_e32 v27, v25
	v_fmac_f32_e32 v26, 0x32a5705f, v4
	v_sub_f32_e32 v25, v25, v27
	v_add_f32_e32 v25, v25, v26
	v_cmp_ngt_f32_e32 vcc, s33, v3
	v_exp_f32_e32 v25, v25
	v_cvt_i32_f32_e32 v26, v27
	v_cndmask_b32_e32 v24, 0, v24, vcc
	v_cmp_nlt_f32_e32 vcc, s34, v3
	v_cndmask_b32_e32 v3, v23, v24, vcc
	v_add_f32_e32 v24, v18, v3
	v_sub_f32_e32 v5, v5, v16
	v_cndmask_b32_e64 v18, v18, v24, s[24:25]
	v_ldexp_f32 v24, v25, v26
	v_mul_f32_e32 v25, 0x3fb8aa3b, v5
	v_fma_f32 v26, v5, s35, -v25
	v_rndne_f32_e32 v27, v25
	v_fmac_f32_e32 v26, 0x32a5705f, v5
	v_sub_f32_e32 v25, v25, v27
	v_add_f32_e32 v25, v25, v26
	v_cmp_ngt_f32_e32 vcc, s33, v4
	v_exp_f32_e32 v25, v25
	v_cvt_i32_f32_e32 v26, v27
	v_cndmask_b32_e32 v24, 0, v24, vcc
	v_cmp_nlt_f32_e32 vcc, s34, v4
	;; [unrolled: 16-line block ×11, first 2 shown]
	v_cndmask_b32_e32 v13, v23, v24, vcc
	v_sub_f32_e32 v15, v15, v16
	v_add_f32_e32 v24, v18, v13
	v_mul_f32_e32 v16, 0x3fb8aa3b, v15
	v_cndmask_b32_e64 v18, v18, v24, s[4:5]
	v_ldexp_f32 v24, v25, v26
	v_fma_f32 v25, v15, s35, -v16
	v_rndne_f32_e32 v26, v16
	v_fmac_f32_e32 v25, 0x32a5705f, v15
	v_sub_f32_e32 v16, v16, v26
	v_add_f32_e32 v16, v16, v25
	v_exp_f32_e32 v16, v16
	v_cvt_i32_f32_e32 v25, v26
	v_cmp_ngt_f32_e32 vcc, s33, v14
	v_cndmask_b32_e32 v24, 0, v24, vcc
	v_cmp_nlt_f32_e32 vcc, s34, v14
	v_cndmask_b32_e32 v14, v23, v24, vcc
	v_ldexp_f32 v16, v16, v25
	v_cmp_ngt_f32_e32 vcc, s33, v15
	v_add_f32_e32 v24, v18, v14
	v_cndmask_b32_e32 v16, 0, v16, vcc
	v_cmp_nlt_f32_e32 vcc, s34, v15
	v_cndmask_b32_e64 v18, v18, v24, s[2:3]
	v_cndmask_b32_e32 v15, v23, v16, vcc
	v_add_f32_e32 v16, v18, v15
	v_cndmask_b32_e64 v16, v18, v16, s[0:1]
	ds_bpermute_b32 v18, v19, v16
	v_cndmask_b32_e64 v1, 0, v1, s[28:29]
	v_cndmask_b32_e64 v2, 0, v2, s[26:27]
	v_cndmask_b32_e64 v3, 0, v3, s[24:25]
	v_cndmask_b32_e64 v4, 0, v4, s[22:23]
	s_waitcnt lgkmcnt(0)
	v_add_f32_e32 v16, v16, v18
	ds_bpermute_b32 v18, v20, v16
	v_cndmask_b32_e64 v5, 0, v5, s[20:21]
	v_cndmask_b32_e64 v6, 0, v6, s[18:19]
	v_cndmask_b32_e64 v7, 0, v7, s[16:17]
	v_cndmask_b32_e64 v8, 0, v8, s[14:15]
	s_waitcnt lgkmcnt(0)
	v_add_f32_e32 v16, v16, v18
	;; [unrolled: 7-line block ×3, first 2 shown]
	ds_bpermute_b32 v18, v22, v16
	v_cndmask_b32_e64 v13, 0, v13, s[4:5]
	v_cndmask_b32_e64 v14, 0, v14, s[2:3]
	;; [unrolled: 1-line block ×3, first 2 shown]
	s_waitcnt lgkmcnt(0)
	v_add_f32_e32 v16, v16, v18
	ds_bpermute_b32 v17, v17, v16
	s_waitcnt lgkmcnt(0)
	v_add_f32_e32 v16, v16, v17
	v_div_scale_f32 v17, s[34:35], v16, v16, 1.0
	v_rcp_f32_e32 v18, v17
	v_fma_f32 v19, -v17, v18, 1.0
	v_fmac_f32_e32 v18, v19, v18
	v_div_scale_f32 v19, vcc, 1.0, v16, 1.0
	v_mul_f32_e32 v20, v19, v18
	v_fma_f32 v21, -v17, v20, v19
	v_fmac_f32_e32 v20, v21, v18
	v_fma_f32 v17, -v17, v20, v19
	v_div_fmas_f32 v17, v17, v18, v20
	v_div_fixup_f32 v16, v17, v16, 1.0
	v_mul_f32_e32 v17, v0, v16
	v_cndmask_b32_e64 v0, v0, v17, s[30:31]
	v_mul_f32_e32 v17, v1, v16
	v_cndmask_b32_e64 v1, v1, v17, s[28:29]
	;; [unrolled: 2-line block ×14, first 2 shown]
	v_mul_f32_e32 v17, v14, v16
	v_mul_f32_e32 v16, v15, v16
	v_cndmask_b32_e64 v14, v14, v17, s[2:3]
	v_cndmask_b32_e64 v15, v15, v16, s[0:1]
.LBB20_41:
	v_mul_lo_u32 v16, v51, s37
	v_ashrrev_i32_e32 v17, 31, v16
	v_lshlrev_b64 v[16:17], 2, v[16:17]
	s_waitcnt vmcnt(13)
	v_mov_b32_e32 v18, s43
	v_add_co_u32_e32 v16, vcc, s42, v16
	v_addc_co_u32_e32 v17, vcc, v18, v17, vcc
	v_cmp_gt_i32_e32 vcc, s37, v52
	s_and_saveexec_b64 s[0:1], vcc
	s_cbranch_execnz .LBB20_59
; %bb.42:
	s_or_b64 exec, exec, s[0:1]
	v_cmp_gt_i32_e32 vcc, s37, v67
	s_and_saveexec_b64 s[0:1], vcc
	s_cbranch_execnz .LBB20_60
.LBB20_43:
	s_or_b64 exec, exec, s[0:1]
	v_cmp_gt_i32_e32 vcc, s37, v66
	s_and_saveexec_b64 s[0:1], vcc
	s_cbranch_execnz .LBB20_61
.LBB20_44:
	s_or_b64 exec, exec, s[0:1]
	v_cmp_gt_i32_e32 vcc, s37, v65
	s_and_saveexec_b64 s[0:1], vcc
	s_cbranch_execnz .LBB20_62
.LBB20_45:
	s_or_b64 exec, exec, s[0:1]
	v_cmp_gt_i32_e32 vcc, s37, v64
	s_and_saveexec_b64 s[0:1], vcc
	s_cbranch_execnz .LBB20_63
.LBB20_46:
	s_or_b64 exec, exec, s[0:1]
	v_cmp_gt_i32_e32 vcc, s37, v63
	s_and_saveexec_b64 s[0:1], vcc
	s_cbranch_execnz .LBB20_64
.LBB20_47:
	s_or_b64 exec, exec, s[0:1]
	v_cmp_gt_i32_e32 vcc, s37, v62
	s_and_saveexec_b64 s[0:1], vcc
	s_cbranch_execnz .LBB20_65
.LBB20_48:
	s_or_b64 exec, exec, s[0:1]
	v_cmp_gt_i32_e32 vcc, s37, v61
	s_and_saveexec_b64 s[0:1], vcc
	s_cbranch_execnz .LBB20_66
.LBB20_49:
	s_or_b64 exec, exec, s[0:1]
	v_cmp_gt_i32_e32 vcc, s37, v60
	s_and_saveexec_b64 s[0:1], vcc
	s_cbranch_execnz .LBB20_67
.LBB20_50:
	s_or_b64 exec, exec, s[0:1]
	v_cmp_gt_i32_e32 vcc, s37, v59
	s_and_saveexec_b64 s[0:1], vcc
	s_cbranch_execnz .LBB20_68
.LBB20_51:
	s_or_b64 exec, exec, s[0:1]
	v_cmp_gt_i32_e32 vcc, s37, v58
	s_and_saveexec_b64 s[0:1], vcc
	s_cbranch_execnz .LBB20_69
.LBB20_52:
	s_or_b64 exec, exec, s[0:1]
	v_cmp_gt_i32_e32 vcc, s37, v57
	s_and_saveexec_b64 s[0:1], vcc
	s_cbranch_execnz .LBB20_70
.LBB20_53:
	s_or_b64 exec, exec, s[0:1]
	v_cmp_gt_i32_e32 vcc, s37, v56
	s_and_saveexec_b64 s[0:1], vcc
	s_cbranch_execnz .LBB20_71
.LBB20_54:
	s_or_b64 exec, exec, s[0:1]
	v_cmp_gt_i32_e32 vcc, s37, v55
	s_and_saveexec_b64 s[0:1], vcc
	s_cbranch_execnz .LBB20_72
.LBB20_55:
	s_or_b64 exec, exec, s[0:1]
	v_cmp_gt_i32_e32 vcc, s37, v54
	s_and_saveexec_b64 s[0:1], vcc
	s_cbranch_execnz .LBB20_73
.LBB20_56:
	s_or_b64 exec, exec, s[0:1]
	v_cmp_gt_i32_e32 vcc, s37, v53
	s_and_b64 exec, exec, vcc
	s_cbranch_execz .LBB20_58
.LBB20_57:
	v_add_co_u32_e32 v0, vcc, v16, v50
	v_addc_co_u32_e32 v1, vcc, 0, v17, vcc
	v_mul_f32_e32 v2, s39, v15
	global_store_dword v[0:1], v2, off offset:1920
.LBB20_58:
	s_endpgm
.LBB20_59:
	v_add_co_u32_e32 v18, vcc, v16, v50
	s_waitcnt vmcnt(12)
	v_addc_co_u32_e32 v19, vcc, 0, v17, vcc
	v_mul_f32_e32 v0, s39, v0
	global_store_dword v[18:19], v0, off
	s_or_b64 exec, exec, s[0:1]
	v_cmp_gt_i32_e32 vcc, s37, v67
	s_and_saveexec_b64 s[0:1], vcc
	s_cbranch_execz .LBB20_43
.LBB20_60:
	v_add_co_u32_e32 v18, vcc, v16, v50
	s_waitcnt vmcnt(12)
	v_addc_co_u32_e32 v19, vcc, 0, v17, vcc
	v_mul_f32_e32 v0, s39, v1
	global_store_dword v[18:19], v0, off offset:128
	s_or_b64 exec, exec, s[0:1]
	v_cmp_gt_i32_e32 vcc, s37, v66
	s_and_saveexec_b64 s[0:1], vcc
	s_cbranch_execz .LBB20_44
.LBB20_61:
	v_add_co_u32_e32 v0, vcc, v16, v50
	v_addc_co_u32_e32 v1, vcc, 0, v17, vcc
	v_mul_f32_e32 v2, s39, v2
	global_store_dword v[0:1], v2, off offset:256
	s_or_b64 exec, exec, s[0:1]
	v_cmp_gt_i32_e32 vcc, s37, v65
	s_and_saveexec_b64 s[0:1], vcc
	s_cbranch_execz .LBB20_45
.LBB20_62:
	v_add_co_u32_e32 v0, vcc, v16, v50
	v_addc_co_u32_e32 v1, vcc, 0, v17, vcc
	v_mul_f32_e32 v2, s39, v3
	global_store_dword v[0:1], v2, off offset:384
	s_or_b64 exec, exec, s[0:1]
	v_cmp_gt_i32_e32 vcc, s37, v64
	s_and_saveexec_b64 s[0:1], vcc
	s_cbranch_execz .LBB20_46
.LBB20_63:
	v_add_co_u32_e32 v0, vcc, v16, v50
	v_addc_co_u32_e32 v1, vcc, 0, v17, vcc
	v_mul_f32_e32 v2, s39, v4
	global_store_dword v[0:1], v2, off offset:512
	s_or_b64 exec, exec, s[0:1]
	v_cmp_gt_i32_e32 vcc, s37, v63
	s_and_saveexec_b64 s[0:1], vcc
	s_cbranch_execz .LBB20_47
.LBB20_64:
	v_add_co_u32_e32 v0, vcc, v16, v50
	v_addc_co_u32_e32 v1, vcc, 0, v17, vcc
	v_mul_f32_e32 v2, s39, v5
	global_store_dword v[0:1], v2, off offset:640
	s_or_b64 exec, exec, s[0:1]
	v_cmp_gt_i32_e32 vcc, s37, v62
	s_and_saveexec_b64 s[0:1], vcc
	s_cbranch_execz .LBB20_48
.LBB20_65:
	v_add_co_u32_e32 v0, vcc, v16, v50
	v_addc_co_u32_e32 v1, vcc, 0, v17, vcc
	v_mul_f32_e32 v2, s39, v6
	global_store_dword v[0:1], v2, off offset:768
	s_or_b64 exec, exec, s[0:1]
	v_cmp_gt_i32_e32 vcc, s37, v61
	s_and_saveexec_b64 s[0:1], vcc
	s_cbranch_execz .LBB20_49
.LBB20_66:
	v_add_co_u32_e32 v0, vcc, v16, v50
	v_addc_co_u32_e32 v1, vcc, 0, v17, vcc
	v_mul_f32_e32 v2, s39, v7
	global_store_dword v[0:1], v2, off offset:896
	s_or_b64 exec, exec, s[0:1]
	v_cmp_gt_i32_e32 vcc, s37, v60
	s_and_saveexec_b64 s[0:1], vcc
	s_cbranch_execz .LBB20_50
.LBB20_67:
	v_add_co_u32_e32 v0, vcc, v16, v50
	v_addc_co_u32_e32 v1, vcc, 0, v17, vcc
	v_mul_f32_e32 v2, s39, v8
	global_store_dword v[0:1], v2, off offset:1024
	s_or_b64 exec, exec, s[0:1]
	v_cmp_gt_i32_e32 vcc, s37, v59
	s_and_saveexec_b64 s[0:1], vcc
	s_cbranch_execz .LBB20_51
.LBB20_68:
	v_add_co_u32_e32 v0, vcc, v16, v50
	v_addc_co_u32_e32 v1, vcc, 0, v17, vcc
	v_mul_f32_e32 v2, s39, v9
	global_store_dword v[0:1], v2, off offset:1152
	s_or_b64 exec, exec, s[0:1]
	v_cmp_gt_i32_e32 vcc, s37, v58
	s_and_saveexec_b64 s[0:1], vcc
	s_cbranch_execz .LBB20_52
.LBB20_69:
	v_add_co_u32_e32 v0, vcc, v16, v50
	v_addc_co_u32_e32 v1, vcc, 0, v17, vcc
	v_mul_f32_e32 v2, s39, v10
	global_store_dword v[0:1], v2, off offset:1280
	s_or_b64 exec, exec, s[0:1]
	v_cmp_gt_i32_e32 vcc, s37, v57
	s_and_saveexec_b64 s[0:1], vcc
	s_cbranch_execz .LBB20_53
.LBB20_70:
	v_add_co_u32_e32 v0, vcc, v16, v50
	v_addc_co_u32_e32 v1, vcc, 0, v17, vcc
	v_mul_f32_e32 v2, s39, v11
	global_store_dword v[0:1], v2, off offset:1408
	s_or_b64 exec, exec, s[0:1]
	v_cmp_gt_i32_e32 vcc, s37, v56
	s_and_saveexec_b64 s[0:1], vcc
	s_cbranch_execz .LBB20_54
.LBB20_71:
	v_add_co_u32_e32 v0, vcc, v16, v50
	v_addc_co_u32_e32 v1, vcc, 0, v17, vcc
	v_mul_f32_e32 v2, s39, v12
	global_store_dword v[0:1], v2, off offset:1536
	s_or_b64 exec, exec, s[0:1]
	v_cmp_gt_i32_e32 vcc, s37, v55
	s_and_saveexec_b64 s[0:1], vcc
	s_cbranch_execz .LBB20_55
.LBB20_72:
	v_add_co_u32_e32 v0, vcc, v16, v50
	v_addc_co_u32_e32 v1, vcc, 0, v17, vcc
	v_mul_f32_e32 v2, s39, v13
	global_store_dword v[0:1], v2, off offset:1664
	s_or_b64 exec, exec, s[0:1]
	v_cmp_gt_i32_e32 vcc, s37, v54
	s_and_saveexec_b64 s[0:1], vcc
	s_cbranch_execz .LBB20_56
.LBB20_73:
	v_add_co_u32_e32 v0, vcc, v16, v50
	v_addc_co_u32_e32 v1, vcc, 0, v17, vcc
	v_mul_f32_e32 v2, s39, v14
	global_store_dword v[0:1], v2, off offset:1792
	s_or_b64 exec, exec, s[0:1]
	v_cmp_gt_i32_e32 vcc, s37, v53
	s_and_b64 exec, exec, vcc
	s_cbranch_execnz .LBB20_57
	s_branch .LBB20_58
	.section	.rodata,"a",@progbits
	.p2align	6, 0x0
	.amdhsa_kernel _Z13topk_moe_cudaILi512ELb0EEvPKfPfPiS2_iiff15topk_moe_config
		.amdhsa_group_segment_fixed_size 0
		.amdhsa_private_segment_fixed_size 0
		.amdhsa_kernarg_size 312
		.amdhsa_user_sgpr_count 6
		.amdhsa_user_sgpr_private_segment_buffer 1
		.amdhsa_user_sgpr_dispatch_ptr 0
		.amdhsa_user_sgpr_queue_ptr 0
		.amdhsa_user_sgpr_kernarg_segment_ptr 1
		.amdhsa_user_sgpr_dispatch_id 0
		.amdhsa_user_sgpr_flat_scratch_init 0
		.amdhsa_user_sgpr_kernarg_preload_length 0
		.amdhsa_user_sgpr_kernarg_preload_offset 0
		.amdhsa_user_sgpr_private_segment_size 0
		.amdhsa_uses_dynamic_stack 0
		.amdhsa_system_sgpr_private_segment_wavefront_offset 0
		.amdhsa_system_sgpr_workgroup_id_x 1
		.amdhsa_system_sgpr_workgroup_id_y 0
		.amdhsa_system_sgpr_workgroup_id_z 0
		.amdhsa_system_sgpr_workgroup_info 0
		.amdhsa_system_vgpr_workitem_id 1
		.amdhsa_next_free_vgpr 77
		.amdhsa_next_free_sgpr 46
		.amdhsa_accum_offset 80
		.amdhsa_reserve_vcc 1
		.amdhsa_reserve_flat_scratch 0
		.amdhsa_float_round_mode_32 0
		.amdhsa_float_round_mode_16_64 0
		.amdhsa_float_denorm_mode_32 3
		.amdhsa_float_denorm_mode_16_64 3
		.amdhsa_dx10_clamp 1
		.amdhsa_ieee_mode 1
		.amdhsa_fp16_overflow 0
		.amdhsa_tg_split 0
		.amdhsa_exception_fp_ieee_invalid_op 0
		.amdhsa_exception_fp_denorm_src 0
		.amdhsa_exception_fp_ieee_div_zero 0
		.amdhsa_exception_fp_ieee_overflow 0
		.amdhsa_exception_fp_ieee_underflow 0
		.amdhsa_exception_fp_ieee_inexact 0
		.amdhsa_exception_int_div_zero 0
	.end_amdhsa_kernel
	.section	.text._Z13topk_moe_cudaILi512ELb0EEvPKfPfPiS2_iiff15topk_moe_config,"axG",@progbits,_Z13topk_moe_cudaILi512ELb0EEvPKfPfPiS2_iiff15topk_moe_config,comdat
.Lfunc_end20:
	.size	_Z13topk_moe_cudaILi512ELb0EEvPKfPfPiS2_iiff15topk_moe_config, .Lfunc_end20-_Z13topk_moe_cudaILi512ELb0EEvPKfPfPiS2_iiff15topk_moe_config
                                        ; -- End function
	.section	.AMDGPU.csdata,"",@progbits
; Kernel info:
; codeLenInByte = 10384
; NumSgprs: 50
; NumVgprs: 77
; NumAgprs: 0
; TotalNumVgprs: 77
; ScratchSize: 0
; MemoryBound: 0
; FloatMode: 240
; IeeeMode: 1
; LDSByteSize: 0 bytes/workgroup (compile time only)
; SGPRBlocks: 6
; VGPRBlocks: 9
; NumSGPRsForWavesPerEU: 50
; NumVGPRsForWavesPerEU: 77
; AccumOffset: 80
; Occupancy: 6
; WaveLimiterHint : 1
; COMPUTE_PGM_RSRC2:SCRATCH_EN: 0
; COMPUTE_PGM_RSRC2:USER_SGPR: 6
; COMPUTE_PGM_RSRC2:TRAP_HANDLER: 0
; COMPUTE_PGM_RSRC2:TGID_X_EN: 1
; COMPUTE_PGM_RSRC2:TGID_Y_EN: 0
; COMPUTE_PGM_RSRC2:TGID_Z_EN: 0
; COMPUTE_PGM_RSRC2:TIDIG_COMP_CNT: 1
; COMPUTE_PGM_RSRC3_GFX90A:ACCUM_OFFSET: 19
; COMPUTE_PGM_RSRC3_GFX90A:TG_SPLIT: 0
	.section	.text._Z13topk_moe_cudaILi576ELb0EEvPKfPfPiS2_iiff15topk_moe_config,"axG",@progbits,_Z13topk_moe_cudaILi576ELb0EEvPKfPfPiS2_iiff15topk_moe_config,comdat
	.protected	_Z13topk_moe_cudaILi576ELb0EEvPKfPfPiS2_iiff15topk_moe_config ; -- Begin function _Z13topk_moe_cudaILi576ELb0EEvPKfPfPiS2_iiff15topk_moe_config
	.globl	_Z13topk_moe_cudaILi576ELb0EEvPKfPfPiS2_iiff15topk_moe_config
	.p2align	8
	.type	_Z13topk_moe_cudaILi576ELb0EEvPKfPfPiS2_iiff15topk_moe_config,@function
_Z13topk_moe_cudaILi576ELb0EEvPKfPfPiS2_iiff15topk_moe_config: ; @_Z13topk_moe_cudaILi576ELb0EEvPKfPfPiS2_iiff15topk_moe_config
; %bb.0:
	s_load_dword s6, s[4:5], 0x44
	s_load_dwordx4 s[44:47], s[4:5], 0x20
	s_add_u32 s0, s0, s9
	s_addc_u32 s1, s1, 0
	v_bfe_u32 v1, v0, 10, 10
	s_waitcnt lgkmcnt(0)
	s_lshr_b32 s6, s6, 16
	s_mul_i32 s8, s8, s6
	v_add_u32_e32 v71, s8, v1
	v_cmp_gt_i32_e32 vcc, s44, v71
	s_and_saveexec_b64 s[6:7], vcc
	s_cbranch_execz .LBB21_97
; %bb.1:
	s_load_dwordx4 s[40:43], s[4:5], 0x0
	s_load_dwordx2 s[8:9], s[4:5], 0x10
	s_movk_i32 s6, 0x240
	v_mul_lo_u32 v2, v71, s6
	v_ashrrev_i32_e32 v3, 31, v2
	v_lshlrev_b64 v[2:3], 2, v[2:3]
	s_waitcnt lgkmcnt(0)
	v_mov_b32_e32 v1, s41
	v_add_co_u32_e32 v34, vcc, s40, v2
	v_and_b32_e32 v72, 0x3ff, v0
	v_addc_co_u32_e32 v35, vcc, v1, v3, vcc
	v_lshlrev_b32_e32 v69, 2, v72
	v_add_co_u32_e32 v0, vcc, v34, v69
	v_add_u32_e32 v70, 64, v72
	v_addc_co_u32_e32 v1, vcc, 0, v35, vcc
	v_lshlrev_b32_e32 v68, 2, v70
	v_add_u32_e32 v66, 0x60, v72
	v_add_co_u32_e32 v4, vcc, v34, v68
	v_addc_co_u32_e32 v5, vcc, 0, v35, vcc
	v_lshlrev_b32_e32 v65, 2, v66
	v_add_co_u32_e32 v6, vcc, v34, v65
	v_or_b32_e32 v67, 0x80, v72
	v_addc_co_u32_e32 v7, vcc, 0, v35, vcc
	v_lshlrev_b32_e32 v64, 2, v67
	v_add_u32_e32 v62, 0xa0, v72
	v_add_co_u32_e32 v8, vcc, v34, v64
	v_addc_co_u32_e32 v9, vcc, 0, v35, vcc
	v_lshlrev_b32_e32 v60, 2, v62
	v_add_co_u32_e32 v10, vcc, v34, v60
	v_add_u32_e32 v63, 0xc0, v72
	v_addc_co_u32_e32 v11, vcc, 0, v35, vcc
	v_lshlrev_b32_e32 v59, 2, v63
	v_add_u32_e32 v57, 0xe0, v72
	v_add_co_u32_e32 v20, vcc, v34, v59
	v_addc_co_u32_e32 v21, vcc, 0, v35, vcc
	v_lshlrev_b32_e32 v54, 2, v57
	v_add_co_u32_e32 v22, vcc, v34, v54
	v_or_b32_e32 v61, 0x100, v72
	v_addc_co_u32_e32 v23, vcc, 0, v35, vcc
	v_lshlrev_b32_e32 v58, 2, v61
	global_load_dword v18, v[0:1], off
	global_load_dword v19, v[0:1], off offset:128
	global_load_dword v16, v[4:5], off
	global_load_dword v17, v[6:7], off
	;; [unrolled: 1-line block ×6, first 2 shown]
	v_add_u32_e32 v55, 0x120, v72
	v_add_co_u32_e32 v0, vcc, v34, v58
	v_addc_co_u32_e32 v1, vcc, 0, v35, vcc
	v_lshlrev_b32_e32 v53, 2, v55
	v_add_co_u32_e32 v20, vcc, v34, v53
	v_add_u32_e32 v56, 0x140, v72
	v_addc_co_u32_e32 v21, vcc, 0, v35, vcc
	v_lshlrev_b32_e32 v52, 2, v56
	v_add_u32_e32 v50, 0x160, v72
	v_add_co_u32_e32 v22, vcc, v34, v52
	v_addc_co_u32_e32 v23, vcc, 0, v35, vcc
	v_lshlrev_b32_e32 v49, 2, v50
	v_add_co_u32_e32 v24, vcc, v34, v49
	v_or_b32_e32 v51, 0x180, v72
	v_addc_co_u32_e32 v25, vcc, 0, v35, vcc
	v_lshlrev_b32_e32 v48, 2, v51
	v_add_u32_e32 v45, 0x1a0, v72
	v_add_co_u32_e32 v26, vcc, v34, v48
	v_addc_co_u32_e32 v27, vcc, 0, v35, vcc
	v_lshlrev_b32_e32 v44, 2, v45
	v_add_co_u32_e32 v28, vcc, v34, v44
	v_add_u32_e32 v47, 0x1c0, v72
	v_addc_co_u32_e32 v29, vcc, 0, v35, vcc
	v_lshlrev_b32_e32 v43, 2, v47
	v_add_u32_e32 v41, 0x1e0, v72
	v_add_co_u32_e32 v30, vcc, v34, v43
	v_addc_co_u32_e32 v31, vcc, 0, v35, vcc
	v_lshlrev_b32_e32 v39, 2, v41
	v_add_co_u32_e32 v32, vcc, v34, v39
	v_or_b32_e32 v46, 0x200, v72
	v_addc_co_u32_e32 v33, vcc, 0, v35, vcc
	v_lshlrev_b32_e32 v42, 2, v46
	global_load_dword v10, v[0:1], off
	global_load_dword v11, v[20:21], off
	global_load_dword v8, v[22:23], off
	global_load_dword v9, v[24:25], off
	global_load_dword v6, v[26:27], off
	global_load_dword v7, v[28:29], off
	global_load_dword v4, v[30:31], off
	global_load_dword v5, v[32:33], off
	v_add_u32_e32 v40, 0x220, v72
	v_add_co_u32_e32 v20, vcc, v34, v42
	v_addc_co_u32_e32 v21, vcc, 0, v35, vcc
	v_lshlrev_b32_e32 v38, 2, v40
	v_add_co_u32_e32 v22, vcc, v34, v38
	v_addc_co_u32_e32 v23, vcc, 0, v35, vcc
	global_load_dword v1, v[22:23], off
	global_load_dword v0, v[20:21], off
	v_mov_b32_e32 v20, 0
	global_load_ushort v73, v20, s[4:5] offset:48
	s_load_dword s4, s[4:5], 0x30
	s_waitcnt vmcnt(17)
	buffer_store_dword v19, off, s[0:3], 0 offset:4
	buffer_store_dword v18, off, s[0:3], 0
	s_waitcnt vmcnt(17)
	buffer_store_dword v17, off, s[0:3], 0 offset:12
	buffer_store_dword v16, off, s[0:3], 0 offset:8
	s_waitcnt vmcnt(17)
	buffer_store_dword v15, off, s[0:3], 0 offset:20
	buffer_store_dword v14, off, s[0:3], 0 offset:16
	;; [unrolled: 3-line block ×7, first 2 shown]
	s_waitcnt vmcnt(18)
	buffer_store_dword v1, off, s[0:3], 0 offset:68
	s_waitcnt vmcnt(18)
	buffer_store_dword v0, off, s[0:3], 0 offset:64
	s_waitcnt lgkmcnt(0)
	s_bitcmp1_b32 s4, 16
	s_cselect_b64 s[6:7], -1, 0
	s_and_b64 vcc, exec, s[6:7]
	s_cbranch_vccz .LBB21_23
; %bb.2:
	v_cmp_u_f32_e32 vcc, v18, v18
	s_and_saveexec_b64 s[4:5], vcc
	s_cbranch_execnz .LBB21_118
.LBB21_3:
	s_or_b64 exec, exec, s[4:5]
	v_cmp_u_f32_e32 vcc, v19, v19
	s_and_saveexec_b64 s[4:5], vcc
	s_cbranch_execnz .LBB21_119
.LBB21_4:
	s_or_b64 exec, exec, s[4:5]
	v_cmp_u_f32_e32 vcc, v16, v16
	s_and_saveexec_b64 s[4:5], vcc
	s_cbranch_execnz .LBB21_120
.LBB21_5:
	s_or_b64 exec, exec, s[4:5]
	v_cmp_u_f32_e32 vcc, v17, v17
	s_and_saveexec_b64 s[4:5], vcc
	s_cbranch_execnz .LBB21_121
.LBB21_6:
	s_or_b64 exec, exec, s[4:5]
	v_cmp_u_f32_e32 vcc, v14, v14
	s_and_saveexec_b64 s[4:5], vcc
	s_cbranch_execnz .LBB21_122
.LBB21_7:
	s_or_b64 exec, exec, s[4:5]
	v_cmp_u_f32_e32 vcc, v15, v15
	s_and_saveexec_b64 s[4:5], vcc
	s_cbranch_execnz .LBB21_123
.LBB21_8:
	s_or_b64 exec, exec, s[4:5]
	v_cmp_u_f32_e32 vcc, v12, v12
	s_and_saveexec_b64 s[4:5], vcc
	s_cbranch_execnz .LBB21_124
.LBB21_9:
	s_or_b64 exec, exec, s[4:5]
	v_cmp_u_f32_e32 vcc, v13, v13
	s_and_saveexec_b64 s[4:5], vcc
	s_cbranch_execnz .LBB21_125
.LBB21_10:
	s_or_b64 exec, exec, s[4:5]
	v_cmp_u_f32_e32 vcc, v10, v10
	s_and_saveexec_b64 s[4:5], vcc
	s_cbranch_execnz .LBB21_126
.LBB21_11:
	s_or_b64 exec, exec, s[4:5]
	v_cmp_u_f32_e32 vcc, v11, v11
	s_and_saveexec_b64 s[4:5], vcc
	s_cbranch_execnz .LBB21_127
.LBB21_12:
	s_or_b64 exec, exec, s[4:5]
	v_cmp_u_f32_e32 vcc, v8, v8
	s_and_saveexec_b64 s[4:5], vcc
	s_cbranch_execnz .LBB21_128
.LBB21_13:
	s_or_b64 exec, exec, s[4:5]
	v_cmp_u_f32_e32 vcc, v9, v9
	s_and_saveexec_b64 s[4:5], vcc
	s_cbranch_execnz .LBB21_129
.LBB21_14:
	s_or_b64 exec, exec, s[4:5]
	v_cmp_u_f32_e32 vcc, v6, v6
	s_and_saveexec_b64 s[4:5], vcc
	s_cbranch_execnz .LBB21_130
.LBB21_15:
	s_or_b64 exec, exec, s[4:5]
	v_cmp_u_f32_e32 vcc, v7, v7
	s_and_saveexec_b64 s[4:5], vcc
	s_cbranch_execnz .LBB21_131
.LBB21_16:
	s_or_b64 exec, exec, s[4:5]
	v_cmp_u_f32_e32 vcc, v4, v4
	s_and_saveexec_b64 s[4:5], vcc
	s_cbranch_execnz .LBB21_132
.LBB21_17:
	s_or_b64 exec, exec, s[4:5]
	v_cmp_u_f32_e32 vcc, v5, v5
	s_and_saveexec_b64 s[4:5], vcc
	s_cbranch_execnz .LBB21_133
.LBB21_18:
	s_or_b64 exec, exec, s[4:5]
	v_cmp_u_f32_e32 vcc, v0, v0
	s_and_saveexec_b64 s[4:5], vcc
	s_cbranch_execnz .LBB21_134
.LBB21_19:
	s_or_b64 exec, exec, s[4:5]
	v_cmp_u_f32_e32 vcc, v1, v1
	s_and_saveexec_b64 s[4:5], vcc
	s_cbranch_execz .LBB21_21
.LBB21_20:
	v_mov_b32_e32 v0, 0xff7fffff
	buffer_store_dword v0, off, s[0:3], 0 offset:68
.LBB21_21:
	s_or_b64 exec, exec, s[4:5]
	s_waitcnt vmcnt(18)
	v_lshrrev_b16_e32 v0, 8, v73
	v_readfirstlane_b32 s12, v0
	s_mov_b32 s13, 0
	v_mov_b32_e32 v0, 0
	s_cmp_gt_i32 s45, 0
	buffer_store_dword v0, off, s[0:3], 0 offset:84
	buffer_store_dword v0, off, s[0:3], 0 offset:80
	;; [unrolled: 1-line block ×18, first 2 shown]
	s_cbranch_scc1 .LBB21_25
; %bb.22:
	s_bitcmp1_b32 s12, 0
	s_mov_b64 s[4:5], 0
	s_cselect_b64 s[10:11], -1, 0
	s_branch .LBB21_26
.LBB21_23:
	s_waitcnt vmcnt(18)
	v_and_b32_e32 v20, 1, v73
	v_cmp_eq_u32_e32 vcc, 0, v20
	s_cbranch_vccz .LBB21_115
; %bb.24:
	s_mov_b32 s4, 0xff800000
	v_max3_f32 v20, v18, s4, v19
	v_max3_f32 v20, v20, v16, v17
	;; [unrolled: 1-line block ×3, first 2 shown]
	v_mbcnt_lo_u32_b32 v21, -1, 0
	v_max3_f32 v20, v20, v12, v13
	v_mbcnt_hi_u32_b32 v21, -1, v21
	v_max3_f32 v20, v20, v10, v11
	v_and_b32_e32 v22, 0x60, v21
	v_max3_f32 v20, v20, v8, v9
	v_add_u32_e32 v22, 32, v22
	v_xor_b32_e32 v23, 16, v21
	v_max3_f32 v20, v20, v6, v7
	v_cmp_lt_i32_e32 vcc, v23, v22
	v_max3_f32 v20, v20, v4, v5
	v_cndmask_b32_e32 v23, v21, v23, vcc
	v_max3_f32 v20, v20, v0, v1
	v_lshlrev_b32_e32 v76, 2, v23
	ds_bpermute_b32 v23, v76, v20
	s_mov_b32 s10, 0x3fb8aa3b
	s_mov_b32 s4, 0xc2ce8ed0
	;; [unrolled: 1-line block ×3, first 2 shown]
	v_mov_b32_e32 v81, 0x7f800000
	s_waitcnt lgkmcnt(0)
	v_max_f32_e32 v23, v23, v23
	v_max_f32_e32 v20, v20, v23
	v_xor_b32_e32 v23, 8, v21
	v_cmp_lt_i32_e32 vcc, v23, v22
	v_cndmask_b32_e32 v23, v21, v23, vcc
	v_lshlrev_b32_e32 v77, 2, v23
	ds_bpermute_b32 v23, v77, v20
	s_waitcnt lgkmcnt(0)
	v_max_f32_e32 v23, v23, v23
	v_max_f32_e32 v20, v20, v23
	v_xor_b32_e32 v23, 4, v21
	v_cmp_lt_i32_e32 vcc, v23, v22
	v_cndmask_b32_e32 v23, v21, v23, vcc
	v_lshlrev_b32_e32 v78, 2, v23
	ds_bpermute_b32 v23, v78, v20
	;; [unrolled: 8-line block ×4, first 2 shown]
	s_waitcnt lgkmcnt(0)
	v_max_f32_e32 v21, v21, v21
	v_max_f32_e32 v20, v20, v21
	v_pk_add_f32 v[22:23], v[0:1], v[20:21] op_sel_hi:[1,0] neg_lo:[0,1] neg_hi:[0,1]
	v_mul_f32_e32 v21, 0x3fb8aa3b, v23
	v_fma_f32 v24, v23, s10, -v21
	v_rndne_f32_e32 v25, v21
	v_fmac_f32_e32 v24, 0x32a5705f, v23
	v_sub_f32_e32 v21, v21, v25
	v_add_f32_e32 v21, v21, v24
	v_exp_f32_e32 v21, v21
	v_cvt_i32_f32_e32 v24, v25
	v_cmp_ngt_f32_e32 vcc, s4, v23
	v_ldexp_f32 v21, v21, v24
	v_mul_f32_e32 v24, 0x3fb8aa3b, v22
	v_fma_f32 v25, v22, s10, -v24
	v_rndne_f32_e32 v26, v24
	v_fmac_f32_e32 v25, 0x32a5705f, v22
	v_sub_f32_e32 v24, v24, v26
	v_add_f32_e32 v24, v24, v25
	v_exp_f32_e32 v24, v24
	v_cvt_i32_f32_e32 v25, v26
	v_cndmask_b32_e32 v21, 0, v21, vcc
	v_cmp_nlt_f32_e32 vcc, s5, v23
	v_cndmask_b32_e32 v31, v81, v21, vcc
	v_ldexp_f32 v21, v24, v25
	v_pk_add_f32 v[24:25], v[4:5], v[20:21] op_sel_hi:[1,0] neg_lo:[0,1] neg_hi:[0,1]
	v_mul_f32_e32 v23, 0x3fb8aa3b, v25
	v_fma_f32 v26, v25, s10, -v23
	v_rndne_f32_e32 v27, v23
	v_fmac_f32_e32 v26, 0x32a5705f, v25
	v_sub_f32_e32 v23, v23, v27
	v_add_f32_e32 v23, v23, v26
	v_exp_f32_e32 v23, v23
	v_cvt_i32_f32_e32 v26, v27
	v_cmp_ngt_f32_e32 vcc, s4, v22
	v_cndmask_b32_e32 v21, 0, v21, vcc
	v_cmp_nlt_f32_e32 vcc, s5, v22
	v_mul_f32_e32 v22, 0x3fb8aa3b, v24
	v_cndmask_b32_e32 v30, v81, v21, vcc
	v_ldexp_f32 v21, v23, v26
	v_fma_f32 v23, v24, s10, -v22
	v_rndne_f32_e32 v26, v22
	v_fmac_f32_e32 v23, 0x32a5705f, v24
	v_sub_f32_e32 v22, v22, v26
	v_add_f32_e32 v22, v22, v23
	v_exp_f32_e32 v22, v22
	v_cvt_i32_f32_e32 v23, v26
	v_cmp_ngt_f32_e32 vcc, s4, v25
	v_cndmask_b32_e32 v21, 0, v21, vcc
	v_cmp_nlt_f32_e32 vcc, s5, v25
	v_cndmask_b32_e32 v33, v81, v21, vcc
	v_ldexp_f32 v21, v22, v23
	v_pk_add_f32 v[22:23], v[6:7], v[20:21] op_sel_hi:[1,0] neg_lo:[0,1] neg_hi:[0,1]
	v_mul_f32_e32 v25, 0x3fb8aa3b, v23
	v_fma_f32 v26, v23, s10, -v25
	v_rndne_f32_e32 v27, v25
	v_fmac_f32_e32 v26, 0x32a5705f, v23
	v_sub_f32_e32 v25, v25, v27
	v_add_f32_e32 v25, v25, v26
	v_exp_f32_e32 v25, v25
	v_cvt_i32_f32_e32 v26, v27
	v_cmp_ngt_f32_e32 vcc, s4, v24
	v_cndmask_b32_e32 v21, 0, v21, vcc
	v_cmp_nlt_f32_e32 vcc, s5, v24
	v_mul_f32_e32 v24, 0x3fb8aa3b, v22
	v_cndmask_b32_e32 v32, v81, v21, vcc
	v_ldexp_f32 v21, v25, v26
	v_fma_f32 v25, v22, s10, -v24
	v_rndne_f32_e32 v26, v24
	v_fmac_f32_e32 v25, 0x32a5705f, v22
	v_sub_f32_e32 v24, v24, v26
	v_add_f32_e32 v24, v24, v25
	v_exp_f32_e32 v24, v24
	v_cvt_i32_f32_e32 v25, v26
	v_cmp_ngt_f32_e32 vcc, s4, v23
	;; [unrolled: 27-line block ×7, first 2 shown]
	v_cndmask_b32_e32 v21, 0, v21, vcc
	v_cmp_nlt_f32_e32 vcc, s5, v75
	v_cndmask_b32_e32 v23, v81, v21, vcc
	v_pk_add_f32 v[20:21], v[18:19], v[20:21] op_sel_hi:[1,0] neg_lo:[0,1] neg_hi:[0,1]
	v_mul_f32_e32 v75, 0x3fb8aa3b, v21
	v_ldexp_f32 v22, v22, v82
	v_fma_f32 v82, v21, s10, -v75
	v_rndne_f32_e32 v83, v75
	v_fmac_f32_e32 v82, 0x32a5705f, v21
	v_sub_f32_e32 v75, v75, v83
	v_add_f32_e32 v75, v75, v82
	v_exp_f32_e32 v75, v75
	v_cvt_i32_f32_e32 v82, v83
	v_cmp_ngt_f32_e32 vcc, s4, v74
	v_cndmask_b32_e32 v22, 0, v22, vcc
	v_cmp_nlt_f32_e32 vcc, s5, v74
	v_ldexp_f32 v74, v75, v82
	v_mul_f32_e32 v75, 0x3fb8aa3b, v20
	v_fma_f32 v82, v20, s10, -v75
	v_rndne_f32_e32 v83, v75
	v_fmac_f32_e32 v82, 0x32a5705f, v20
	v_sub_f32_e32 v75, v75, v83
	v_add_f32_e32 v75, v75, v82
	v_exp_f32_e32 v75, v75
	v_cvt_i32_f32_e32 v82, v83
	v_cndmask_b32_e32 v22, v81, v22, vcc
	v_cmp_ngt_f32_e32 vcc, s4, v21
	v_cndmask_b32_e32 v74, 0, v74, vcc
	v_cmp_nlt_f32_e32 vcc, s5, v21
	v_cndmask_b32_e32 v21, v81, v74, vcc
	v_ldexp_f32 v74, v75, v82
	v_cmp_ngt_f32_e32 vcc, s4, v20
	v_cndmask_b32_e32 v74, 0, v74, vcc
	v_cmp_nlt_f32_e32 vcc, s5, v20
	v_cndmask_b32_e32 v20, v81, v74, vcc
	v_add_f32_e32 v74, v20, v21
	v_add_f32_e32 v74, v22, v74
	;; [unrolled: 1-line block ×17, first 2 shown]
	ds_bpermute_b32 v75, v76, v74
	s_waitcnt lgkmcnt(0)
	v_add_f32_e32 v74, v74, v75
	ds_bpermute_b32 v75, v77, v74
	s_waitcnt lgkmcnt(0)
	v_add_f32_e32 v74, v74, v75
	;; [unrolled: 3-line block ×5, first 2 shown]
	v_div_scale_f32 v75, s[4:5], v74, v74, 1.0
	v_rcp_f32_e32 v76, v75
	v_fma_f32 v77, -v75, v76, 1.0
	v_fmac_f32_e32 v76, v77, v76
	v_div_scale_f32 v77, vcc, 1.0, v74, 1.0
	v_mul_f32_e32 v78, v77, v76
	v_fma_f32 v79, -v75, v78, v77
	v_fmac_f32_e32 v78, v79, v76
	v_fma_f32 v75, -v75, v78, v77
	v_div_fmas_f32 v75, v75, v76, v78
	v_div_fixup_f32 v74, v75, v74, 1.0
	v_pk_mul_f32 v[20:21], v[20:21], v[74:75] op_sel_hi:[1,0]
	v_pk_mul_f32 v[22:23], v[22:23], v[74:75] op_sel_hi:[1,0]
	;; [unrolled: 1-line block ×8, first 2 shown]
	buffer_store_dword v21, off, s[0:3], 0 offset:4
	buffer_store_dword v20, off, s[0:3], 0
	buffer_store_dword v23, off, s[0:3], 0 offset:12
	buffer_store_dword v22, off, s[0:3], 0 offset:8
	;; [unrolled: 1-line block ×14, first 2 shown]
	v_pk_mul_f32 v[30:31], v[30:31], v[74:75] op_sel_hi:[1,0]
	s_cbranch_execz .LBB21_116
	s_branch .LBB21_117
.LBB21_25:
	s_mov_b64 s[4:5], -1
                                        ; implicit-def: $sgpr13
                                        ; implicit-def: $sgpr10_sgpr11
.LBB21_26:
	v_add_u32_e32 v13, 32, v72
	s_andn2_b64 vcc, exec, s[4:5]
	v_mov_b32_e32 v4, s13
	v_mbcnt_lo_u32_b32 v12, -1, 0
	s_cbranch_vccnz .LBB21_55
; %bb.27:
	v_mbcnt_hi_u32_b32 v4, -1, v12
	v_mov_b32_e32 v1, s9
	v_add_co_u32_e32 v0, vcc, s8, v2
	v_and_b32_e32 v2, 0x60, v4
	v_addc_co_u32_e32 v1, vcc, v1, v3, vcc
	v_add_u32_e32 v7, 32, v2
	v_xor_b32_e32 v2, 16, v4
	v_cmp_lt_i32_e32 vcc, v2, v7
	v_xor_b32_e32 v3, 8, v4
	v_cndmask_b32_e32 v2, v4, v2, vcc
	v_cmp_lt_i32_e32 vcc, v3, v7
	v_xor_b32_e32 v5, 4, v4
	v_cndmask_b32_e32 v3, v4, v3, vcc
	;; [unrolled: 3-line block ×4, first 2 shown]
	v_cmp_lt_i32_e32 vcc, v8, v7
	s_bitcmp1_b32 s12, 0
	v_cndmask_b32_e32 v4, v4, v8, vcc
	s_mov_b32 s14, 0
	s_cselect_b64 s[10:11], -1, 0
	v_lshlrev_b32_e32 v2, 2, v2
	v_lshlrev_b32_e32 v3, 2, v3
	;; [unrolled: 1-line block ×5, first 2 shown]
	v_mov_b32_e32 v4, 0
	v_mov_b32_e32 v8, 0
	;; [unrolled: 1-line block ×4, first 2 shown]
	s_branch .LBB21_29
.LBB21_28:                              ;   in Loop: Header=BB21_29 Depth=1
	s_or_b64 exec, exec, s[4:5]
	s_add_i32 s14, s14, 1
	v_add_co_u32_e32 v0, vcc, 4, v0
	s_cmp_eq_u32 s45, s14
	v_addc_co_u32_e32 v1, vcc, 0, v1, vcc
	s_cbranch_scc1 .LBB21_55
.LBB21_29:                              ; =>This Inner Loop Header: Depth=1
	buffer_load_dword v11, off, s[0:3], 0
	buffer_load_dword v14, off, s[0:3], 0 offset:4
	buffer_load_dword v15, off, s[0:3], 0 offset:8
	s_waitcnt lgkmcnt(0)
	buffer_load_dword v16, off, s[0:3], 0 offset:12
	buffer_load_dword v17, off, s[0:3], 0 offset:16
	;; [unrolled: 1-line block ×15, first 2 shown]
	s_waitcnt vmcnt(16)
	v_cmp_gt_f32_e32 vcc, v14, v11
	v_cndmask_b32_e32 v11, v11, v14, vcc
	v_cndmask_b32_e32 v14, v72, v13, vcc
	s_waitcnt vmcnt(15)
	v_cmp_gt_f32_e32 vcc, v15, v11
	v_cndmask_b32_e32 v11, v11, v15, vcc
	v_cndmask_b32_e32 v14, v14, v70, vcc
	;; [unrolled: 4-line block ×16, first 2 shown]
	s_waitcnt vmcnt(0)
	v_cmp_gt_f32_e32 vcc, v30, v11
	v_cndmask_b32_e32 v11, v11, v30, vcc
	ds_bpermute_b32 v15, v2, v11
	v_cndmask_b32_e32 v14, v14, v40, vcc
	ds_bpermute_b32 v16, v2, v14
	s_waitcnt lgkmcnt(1)
	v_cmp_lt_f32_e64 s[8:9], v11, v15
	v_cmp_nlt_f32_e32 vcc, v11, v15
	s_and_saveexec_b64 s[12:13], vcc
	s_cbranch_execz .LBB21_31
; %bb.30:                               ;   in Loop: Header=BB21_29 Depth=1
	v_cmp_eq_f32_e32 vcc, v11, v15
	s_waitcnt lgkmcnt(0)
	v_cmp_lt_i32_e64 s[4:5], v16, v14
	s_and_b64 s[4:5], vcc, s[4:5]
	s_andn2_b64 s[8:9], s[8:9], exec
	s_and_b64 s[4:5], s[4:5], exec
	s_or_b64 s[8:9], s[8:9], s[4:5]
.LBB21_31:                              ;   in Loop: Header=BB21_29 Depth=1
	s_or_b64 exec, exec, s[12:13]
	s_and_saveexec_b64 s[4:5], s[8:9]
	s_cbranch_execz .LBB21_33
; %bb.32:                               ;   in Loop: Header=BB21_29 Depth=1
	v_mov_b32_e32 v11, v15
	s_waitcnt lgkmcnt(0)
	v_mov_b32_e32 v14, v16
.LBB21_33:                              ;   in Loop: Header=BB21_29 Depth=1
	s_or_b64 exec, exec, s[4:5]
	s_waitcnt lgkmcnt(0)
	ds_bpermute_b32 v16, v3, v11
	ds_bpermute_b32 v15, v3, v14
	s_waitcnt lgkmcnt(1)
	v_cmp_lt_f32_e64 s[8:9], v11, v16
	v_cmp_nlt_f32_e32 vcc, v11, v16
	s_and_saveexec_b64 s[12:13], vcc
	s_cbranch_execz .LBB21_35
; %bb.34:                               ;   in Loop: Header=BB21_29 Depth=1
	v_cmp_eq_f32_e32 vcc, v11, v16
	s_waitcnt lgkmcnt(0)
	v_cmp_lt_i32_e64 s[4:5], v15, v14
	s_and_b64 s[4:5], vcc, s[4:5]
	s_andn2_b64 s[8:9], s[8:9], exec
	s_and_b64 s[4:5], s[4:5], exec
	s_or_b64 s[8:9], s[8:9], s[4:5]
.LBB21_35:                              ;   in Loop: Header=BB21_29 Depth=1
	s_or_b64 exec, exec, s[12:13]
	s_and_saveexec_b64 s[4:5], s[8:9]
	s_cbranch_execz .LBB21_37
; %bb.36:                               ;   in Loop: Header=BB21_29 Depth=1
	v_mov_b32_e32 v11, v16
	s_waitcnt lgkmcnt(0)
	v_mov_b32_e32 v14, v15
.LBB21_37:                              ;   in Loop: Header=BB21_29 Depth=1
	s_or_b64 exec, exec, s[4:5]
	ds_bpermute_b32 v16, v5, v11
	s_waitcnt lgkmcnt(1)
	ds_bpermute_b32 v15, v5, v14
	s_waitcnt lgkmcnt(1)
	v_cmp_lt_f32_e64 s[8:9], v11, v16
	v_cmp_nlt_f32_e32 vcc, v11, v16
	s_and_saveexec_b64 s[12:13], vcc
	s_cbranch_execz .LBB21_39
; %bb.38:                               ;   in Loop: Header=BB21_29 Depth=1
	v_cmp_eq_f32_e32 vcc, v11, v16
	s_waitcnt lgkmcnt(0)
	v_cmp_lt_i32_e64 s[4:5], v15, v14
	s_and_b64 s[4:5], vcc, s[4:5]
	s_andn2_b64 s[8:9], s[8:9], exec
	s_and_b64 s[4:5], s[4:5], exec
	s_or_b64 s[8:9], s[8:9], s[4:5]
.LBB21_39:                              ;   in Loop: Header=BB21_29 Depth=1
	s_or_b64 exec, exec, s[12:13]
	s_and_saveexec_b64 s[4:5], s[8:9]
	s_cbranch_execz .LBB21_41
; %bb.40:                               ;   in Loop: Header=BB21_29 Depth=1
	v_mov_b32_e32 v11, v16
	s_waitcnt lgkmcnt(0)
	v_mov_b32_e32 v14, v15
.LBB21_41:                              ;   in Loop: Header=BB21_29 Depth=1
	s_or_b64 exec, exec, s[4:5]
	ds_bpermute_b32 v16, v6, v11
	s_waitcnt lgkmcnt(1)
	ds_bpermute_b32 v15, v6, v14
	s_waitcnt lgkmcnt(1)
	v_cmp_lt_f32_e64 s[8:9], v11, v16
	v_cmp_nlt_f32_e32 vcc, v11, v16
	s_and_saveexec_b64 s[12:13], vcc
	s_cbranch_execz .LBB21_43
; %bb.42:                               ;   in Loop: Header=BB21_29 Depth=1
	v_cmp_eq_f32_e32 vcc, v11, v16
	s_waitcnt lgkmcnt(0)
	v_cmp_lt_i32_e64 s[4:5], v15, v14
	s_and_b64 s[4:5], vcc, s[4:5]
	s_andn2_b64 s[8:9], s[8:9], exec
	s_and_b64 s[4:5], s[4:5], exec
	s_or_b64 s[8:9], s[8:9], s[4:5]
.LBB21_43:                              ;   in Loop: Header=BB21_29 Depth=1
	s_or_b64 exec, exec, s[12:13]
	s_and_saveexec_b64 s[4:5], s[8:9]
	s_cbranch_execz .LBB21_45
; %bb.44:                               ;   in Loop: Header=BB21_29 Depth=1
	v_mov_b32_e32 v11, v16
	s_waitcnt lgkmcnt(0)
	v_mov_b32_e32 v14, v15
.LBB21_45:                              ;   in Loop: Header=BB21_29 Depth=1
	s_or_b64 exec, exec, s[4:5]
	s_waitcnt lgkmcnt(0)
	ds_bpermute_b32 v15, v7, v11
	ds_bpermute_b32 v16, v7, v14
	s_waitcnt lgkmcnt(1)
	v_cmp_lt_f32_e64 s[8:9], v11, v15
	v_cmp_nlt_f32_e32 vcc, v11, v15
	s_and_saveexec_b64 s[12:13], vcc
	s_cbranch_execz .LBB21_47
; %bb.46:                               ;   in Loop: Header=BB21_29 Depth=1
	v_cmp_eq_f32_e32 vcc, v11, v15
	s_waitcnt lgkmcnt(0)
	v_cmp_lt_i32_e64 s[4:5], v16, v14
	s_and_b64 s[4:5], vcc, s[4:5]
	s_andn2_b64 s[8:9], s[8:9], exec
	s_and_b64 s[4:5], s[4:5], exec
	s_or_b64 s[8:9], s[8:9], s[4:5]
.LBB21_47:                              ;   in Loop: Header=BB21_29 Depth=1
	s_or_b64 exec, exec, s[12:13]
	s_and_saveexec_b64 s[4:5], s[8:9]
	s_cbranch_execz .LBB21_49
; %bb.48:                               ;   in Loop: Header=BB21_29 Depth=1
	v_mov_b32_e32 v11, v15
	s_waitcnt lgkmcnt(0)
	v_mov_b32_e32 v14, v16
.LBB21_49:                              ;   in Loop: Header=BB21_29 Depth=1
	s_or_b64 exec, exec, s[4:5]
	v_and_b32_e32 v15, 31, v14
	v_cmp_eq_u32_e32 vcc, v15, v72
	s_and_saveexec_b64 s[4:5], vcc
	s_cbranch_execz .LBB21_51
; %bb.50:                               ;   in Loop: Header=BB21_29 Depth=1
	v_ashrrev_i32_e32 v15, 31, v14
	v_lshrrev_b32_e32 v15, 27, v15
	v_add_u32_e32 v15, v14, v15
	v_ashrrev_i32_e32 v15, 5, v15
	v_lshl_add_u32 v15, v15, 2, v8
	buffer_store_dword v9, v15, s[0:3], 0 offen
.LBB21_51:                              ;   in Loop: Header=BB21_29 Depth=1
	s_or_b64 exec, exec, s[4:5]
	s_and_b32 s4, s14, 31
	v_cmp_eq_u32_e64 s[4:5], s4, v72
	s_and_saveexec_b64 s[8:9], s[4:5]
	s_cbranch_execz .LBB21_53
; %bb.52:                               ;   in Loop: Header=BB21_29 Depth=1
	s_lshr_b32 s4, s14, 3
	s_and_b32 s4, s4, 0x1ffffffc
	v_add_u32_e32 v15, s4, v10
	buffer_store_dword v11, v15, s[0:3], 0 offen
.LBB21_53:                              ;   in Loop: Header=BB21_29 Depth=1
	s_or_b64 exec, exec, s[8:9]
	s_and_saveexec_b64 s[4:5], vcc
	s_cbranch_execz .LBB21_28
; %bb.54:                               ;   in Loop: Header=BB21_29 Depth=1
	v_add_f32_e32 v11, v4, v11
	v_cndmask_b32_e64 v4, v4, v11, s[10:11]
	global_store_dword v[0:1], v14, off
	s_branch .LBB21_28
.LBB21_55:
	s_and_b64 vcc, exec, s[10:11]
	s_cbranch_vccz .LBB21_57
; %bb.56:
	buffer_load_dword v0, off, s[0:3], 0 offset:80
	buffer_load_dword v1, off, s[0:3], 0 offset:84
	;; [unrolled: 1-line block ×12, first 2 shown]
	s_waitcnt lgkmcnt(0)
	buffer_load_dword v16, off, s[0:3], 0 offset:128
	buffer_load_dword v17, off, s[0:3], 0 offset:132
	;; [unrolled: 1-line block ×6, first 2 shown]
	v_mbcnt_hi_u32_b32 v5, -1, v12
	v_and_b32_e32 v22, 0x60, v5
	v_xor_b32_e32 v23, 16, v5
	v_add_u32_e32 v22, 32, v22
	v_cmp_lt_i32_e32 vcc, v23, v22
	v_cndmask_b32_e32 v23, v5, v23, vcc
	v_lshlrev_b32_e32 v23, 2, v23
	ds_bpermute_b32 v23, v23, v4
	v_xor_b32_e32 v24, 8, v5
	v_cmp_lt_i32_e32 vcc, v24, v22
	v_cndmask_b32_e32 v24, v5, v24, vcc
	v_lshlrev_b32_e32 v24, 2, v24
	s_waitcnt lgkmcnt(0)
	v_add_f32_e32 v4, v4, v23
	ds_bpermute_b32 v23, v24, v4
	v_xor_b32_e32 v24, 4, v5
	v_cmp_lt_i32_e32 vcc, v24, v22
	v_cndmask_b32_e32 v24, v5, v24, vcc
	v_lshlrev_b32_e32 v24, 2, v24
	s_waitcnt lgkmcnt(0)
	v_add_f32_e32 v4, v4, v23
	;; [unrolled: 7-line block ×4, first 2 shown]
	ds_bpermute_b32 v5, v5, v4
	v_max_f32_e64 v22, s46, s46
	s_waitcnt lgkmcnt(0)
	v_add_f32_e32 v4, v4, v5
	v_max_f32_e32 v4, v4, v22
	v_div_scale_f32 v5, s[4:5], v4, v4, 1.0
	v_rcp_f32_e32 v22, v5
	v_div_scale_f32 v23, vcc, 1.0, v4, 1.0
	v_fma_f32 v24, -v5, v22, 1.0
	v_fmac_f32_e32 v22, v24, v22
	v_mul_f32_e32 v24, v23, v22
	v_fma_f32 v25, -v5, v24, v23
	v_fmac_f32_e32 v24, v25, v22
	v_fma_f32 v5, -v5, v24, v23
	v_div_fmas_f32 v5, v5, v22, v24
	v_div_fixup_f32 v4, v5, v4, 1.0
	s_waitcnt vmcnt(16)
	v_pk_mul_f32 v[0:1], v[4:5], v[0:1] op_sel_hi:[0,1]
	s_waitcnt vmcnt(14)
	v_pk_mul_f32 v[2:3], v[4:5], v[2:3] op_sel_hi:[0,1]
	;; [unrolled: 2-line block ×5, first 2 shown]
	buffer_store_dword v0, off, s[0:3], 0 offset:80
	buffer_store_dword v1, off, s[0:3], 0 offset:84
	;; [unrolled: 1-line block ×10, first 2 shown]
	s_waitcnt vmcnt(16)
	v_pk_mul_f32 v[0:1], v[4:5], v[14:15] op_sel_hi:[0,1]
	buffer_store_dword v0, off, s[0:3], 0 offset:120
	buffer_store_dword v1, off, s[0:3], 0 offset:124
	s_waitcnt vmcnt(16)
	v_pk_mul_f32 v[0:1], v[4:5], v[16:17] op_sel_hi:[0,1]
	buffer_store_dword v0, off, s[0:3], 0 offset:128
	buffer_store_dword v1, off, s[0:3], 0 offset:132
	;; [unrolled: 4-line block ×4, first 2 shown]
.LBB21_57:
	s_andn2_b64 vcc, exec, s[6:7]
	v_cmp_gt_i32_e64 s[38:39], s45, v13
	v_cmp_gt_i32_e64 s[40:41], s45, v72
	;; [unrolled: 1-line block ×18, first 2 shown]
	s_cbranch_vccnz .LBB21_78
; %bb.58:
	buffer_load_dword v18, off, s[0:3], 0 offset:80
	buffer_load_dword v19, off, s[0:3], 0 offset:84
	;; [unrolled: 1-line block ×18, first 2 shown]
	v_mbcnt_hi_u32_b32 v12, -1, v12
	s_waitcnt lgkmcnt(0)
	v_and_b32_e32 v16, 0x60, v12
	v_xor_b32_e32 v22, 16, v12
	v_add_u32_e32 v24, 32, v16
	v_cmp_lt_i32_e32 vcc, v22, v24
	v_cndmask_b32_e32 v16, v12, v22, vcc
	v_mov_b32_e32 v17, 0xff800000
	v_lshlrev_b32_e32 v16, 2, v16
	v_xor_b32_e32 v23, 8, v12
	v_cmp_lt_i32_e32 vcc, v23, v24
	v_cndmask_b32_e32 v23, v12, v23, vcc
	s_mov_b32 s46, 0x3fb8aa3b
	s_mov_b32 s33, 0xc2ce8ed0
	;; [unrolled: 1-line block ×3, first 2 shown]
	s_waitcnt vmcnt(17)
	v_max_f32_e32 v22, v18, v18
	v_max_f32_e32 v22, 0xff800000, v22
	s_waitcnt vmcnt(16)
	v_max_f32_e32 v25, v19, v19
	v_cndmask_b32_e64 v17, v17, v22, s[40:41]
	v_max_f32_e32 v22, v17, v25
	s_waitcnt vmcnt(15)
	v_max_f32_e32 v26, v20, v20
	v_cndmask_b32_e64 v17, v17, v22, s[38:39]
	;; [unrolled: 4-line block ×4, first 2 shown]
	v_max_f32_e32 v22, v17, v28
	v_cndmask_b32_e64 v17, v17, v22, s[30:31]
	s_waitcnt vmcnt(12)
	v_max_f32_e32 v29, v15, v15
	v_max_f32_e32 v22, v17, v17
	v_max_f32_e32 v22, v22, v29
	v_cndmask_b32_e64 v17, v17, v22, s[28:29]
	s_waitcnt vmcnt(11)
	v_max_f32_e32 v30, v10, v10
	v_max_f32_e32 v22, v17, v17
	;; [unrolled: 5-line block ×13, first 2 shown]
	v_max_f32_e32 v22, v22, v76
	v_cndmask_b32_e64 v17, v17, v22, s[4:5]
	ds_bpermute_b32 v22, v16, v17
	v_max_f32_e32 v17, v17, v17
	v_lshlrev_b32_e32 v25, 2, v23
	v_xor_b32_e32 v23, 4, v12
	v_cmp_lt_i32_e32 vcc, v23, v24
	s_waitcnt lgkmcnt(0)
	v_max_f32_e32 v22, v22, v22
	v_max_f32_e32 v17, v17, v22
	ds_bpermute_b32 v22, v25, v17
	v_cndmask_b32_e32 v23, v12, v23, vcc
	v_lshlrev_b32_e32 v26, 2, v23
	v_xor_b32_e32 v23, 2, v12
	v_cmp_lt_i32_e32 vcc, v23, v24
	s_waitcnt lgkmcnt(0)
	v_max_f32_e32 v22, v22, v22
	v_max_f32_e32 v17, v17, v22
	ds_bpermute_b32 v22, v26, v17
	v_cndmask_b32_e32 v23, v12, v23, vcc
	;; [unrolled: 8-line block ×3, first 2 shown]
	v_lshlrev_b32_e32 v24, 2, v12
	v_mov_b32_e32 v28, 0x7f800000
	s_waitcnt lgkmcnt(0)
	v_max_f32_e32 v12, v22, v22
	v_max_f32_e32 v12, v17, v12
	ds_bpermute_b32 v17, v24, v12
	s_waitcnt lgkmcnt(0)
	v_max_f32_e32 v17, v17, v17
	v_max_f32_e32 v12, v12, v17
	v_pk_add_f32 v[18:19], v[18:19], v[12:13] op_sel_hi:[1,0] neg_lo:[0,1] neg_hi:[0,1]
	v_mul_f32_e32 v17, 0x3fb8aa3b, v19
	v_pk_add_f32 v[22:23], v[20:21], v[12:13] op_sel_hi:[1,0] neg_lo:[0,1] neg_hi:[0,1]
	v_mul_f32_e32 v20, 0x3fb8aa3b, v18
	v_fma_f32 v30, v19, s46, -v17
	v_rndne_f32_e32 v31, v17
	v_fma_f32 v32, v18, s46, -v20
	v_rndne_f32_e32 v33, v20
	v_fmac_f32_e32 v30, 0x32a5705f, v19
	v_sub_f32_e32 v17, v17, v31
	v_fmac_f32_e32 v32, 0x32a5705f, v18
	v_sub_f32_e32 v20, v20, v33
	v_add_f32_e32 v17, v17, v30
	v_cvt_i32_f32_e32 v31, v31
	v_add_f32_e32 v20, v20, v32
	v_exp_f32_e32 v17, v17
	v_cvt_i32_f32_e32 v33, v33
	v_exp_f32_e32 v20, v20
	v_mul_f32_e32 v21, 0x3fb8aa3b, v23
	v_fma_f32 v34, v23, s46, -v21
	v_rndne_f32_e32 v35, v21
	v_mul_f32_e32 v29, 0x3fb8aa3b, v22
	v_fmac_f32_e32 v34, 0x32a5705f, v23
	v_sub_f32_e32 v21, v21, v35
	v_ldexp_f32 v17, v17, v31
	v_cmp_ngt_f32_e32 vcc, s33, v19
	v_fma_f32 v36, v22, s46, -v29
	v_rndne_f32_e32 v37, v29
	v_add_f32_e32 v21, v21, v34
	v_ldexp_f32 v20, v20, v33
	v_cndmask_b32_e32 v17, 0, v17, vcc
	v_cmp_ngt_f32_e32 vcc, s33, v18
	v_cvt_i32_f32_e32 v35, v35
	v_fmac_f32_e32 v36, 0x32a5705f, v22
	v_sub_f32_e32 v29, v29, v37
	v_exp_f32_e32 v21, v21
	v_cndmask_b32_e32 v20, 0, v20, vcc
	v_cmp_nlt_f32_e32 vcc, s44, v19
	v_add_f32_e32 v29, v29, v36
	v_cndmask_b32_e32 v17, v28, v17, vcc
	v_cmp_nlt_f32_e32 vcc, s44, v18
	v_cvt_i32_f32_e32 v37, v37
	v_exp_f32_e32 v29, v29
	v_cndmask_b32_e32 v20, v28, v20, vcc
	v_cndmask_b32_e64 v19, 0, v20, s[40:41]
	v_ldexp_f32 v21, v21, v35
	v_cndmask_b32_e64 v18, 0, v17, s[38:39]
	v_add_f32_e32 v17, v17, v19
	v_cmp_ngt_f32_e32 vcc, s33, v23
	buffer_store_dword v19, off, s[0:3], 0 offset:80
	buffer_store_dword v18, off, s[0:3], 0 offset:84
	v_cndmask_b32_e64 v17, v19, v17, s[38:39]
	v_cndmask_b32_e32 v19, 0, v21, vcc
	v_cmp_nlt_f32_e32 vcc, s44, v23
	v_cndmask_b32_e32 v19, v28, v19, vcc
	v_ldexp_f32 v21, v29, v37
	v_cmp_ngt_f32_e32 vcc, s33, v22
	v_cndmask_b32_e32 v21, 0, v21, vcc
	v_cmp_nlt_f32_e32 vcc, s44, v22
	v_cndmask_b32_e32 v21, v28, v21, vcc
	v_add_f32_e32 v22, v21, v17
	v_cndmask_b32_e64 v22, v17, v22, s[36:37]
	v_pk_add_f32 v[14:15], v[14:15], v[12:13] op_sel_hi:[1,0] neg_lo:[0,1] neg_hi:[0,1]
	v_add_f32_e32 v23, v19, v22
	v_cndmask_b32_e64 v17, 0, v19, s[34:35]
	v_cndmask_b32_e64 v19, 0, v21, s[36:37]
	v_mul_f32_e32 v21, 0x3fb8aa3b, v15
	v_fma_f32 v29, v15, s46, -v21
	v_rndne_f32_e32 v30, v21
	v_fmac_f32_e32 v29, 0x32a5705f, v15
	v_sub_f32_e32 v21, v21, v30
	v_add_f32_e32 v21, v21, v29
	v_exp_f32_e32 v21, v21
	v_cvt_i32_f32_e32 v29, v30
	v_cndmask_b32_e64 v22, v22, v23, s[34:35]
	v_mul_f32_e32 v23, 0x3fb8aa3b, v14
	v_rndne_f32_e32 v30, v23
	v_ldexp_f32 v21, v21, v29
	v_fma_f32 v29, v14, s46, -v23
	v_fmac_f32_e32 v29, 0x32a5705f, v14
	v_sub_f32_e32 v23, v23, v30
	v_add_f32_e32 v23, v23, v29
	v_exp_f32_e32 v23, v23
	v_cvt_i32_f32_e32 v29, v30
	v_cmp_ngt_f32_e32 vcc, s33, v15
	v_cndmask_b32_e32 v21, 0, v21, vcc
	v_cmp_nlt_f32_e32 vcc, s44, v15
	v_cndmask_b32_e32 v15, v28, v21, vcc
	v_ldexp_f32 v21, v23, v29
	v_cmp_ngt_f32_e32 vcc, s33, v14
	v_cndmask_b32_e32 v21, 0, v21, vcc
	v_cmp_nlt_f32_e32 vcc, s44, v14
	v_cndmask_b32_e32 v21, v28, v21, vcc
	v_add_f32_e32 v14, v21, v22
	v_cndmask_b32_e64 v22, v22, v14, s[30:31]
	v_pk_add_f32 v[10:11], v[10:11], v[12:13] op_sel_hi:[1,0] neg_lo:[0,1] neg_hi:[0,1]
	v_add_f32_e32 v23, v15, v22
	v_cndmask_b32_e64 v14, 0, v15, s[28:29]
	v_cndmask_b32_e64 v15, 0, v21, s[30:31]
	v_mul_f32_e32 v21, 0x3fb8aa3b, v11
	v_fma_f32 v29, v11, s46, -v21
	v_rndne_f32_e32 v30, v21
	v_fmac_f32_e32 v29, 0x32a5705f, v11
	v_sub_f32_e32 v21, v21, v30
	v_add_f32_e32 v21, v21, v29
	v_exp_f32_e32 v21, v21
	v_cvt_i32_f32_e32 v29, v30
	v_cndmask_b32_e64 v22, v22, v23, s[28:29]
	v_mul_f32_e32 v23, 0x3fb8aa3b, v10
	v_rndne_f32_e32 v30, v23
	v_ldexp_f32 v21, v21, v29
	v_fma_f32 v29, v10, s46, -v23
	v_fmac_f32_e32 v29, 0x32a5705f, v10
	v_sub_f32_e32 v23, v23, v30
	v_add_f32_e32 v23, v23, v29
	v_exp_f32_e32 v23, v23
	v_cvt_i32_f32_e32 v29, v30
	v_cmp_ngt_f32_e32 vcc, s33, v11
	v_cndmask_b32_e32 v21, 0, v21, vcc
	v_cmp_nlt_f32_e32 vcc, s44, v11
	v_cndmask_b32_e32 v21, v28, v21, vcc
	v_ldexp_f32 v11, v23, v29
	v_cmp_ngt_f32_e32 vcc, s33, v10
	v_cndmask_b32_e32 v11, 0, v11, vcc
	v_cmp_nlt_f32_e32 vcc, s44, v10
	v_cndmask_b32_e32 v23, v28, v11, vcc
	v_add_f32_e32 v10, v23, v22
	v_cndmask_b32_e64 v22, v22, v10, s[26:27]
	v_pk_add_f32 v[10:11], v[8:9], v[12:13] op_sel_hi:[1,0] neg_lo:[0,1] neg_hi:[0,1]
	v_mul_f32_e32 v8, 0x3fb8aa3b, v11
	v_fma_f32 v9, v11, s46, -v8
	v_rndne_f32_e32 v29, v8
	v_fmac_f32_e32 v9, 0x32a5705f, v11
	v_sub_f32_e32 v8, v8, v29
	v_add_f32_e32 v8, v8, v9
	v_exp_f32_e32 v9, v8
	v_cvt_i32_f32_e32 v29, v29
	v_add_f32_e32 v30, v21, v22
	v_cndmask_b32_e64 v8, 0, v21, s[24:25]
	v_cndmask_b32_e64 v21, v22, v30, s[24:25]
	v_mul_f32_e32 v22, 0x3fb8aa3b, v10
	v_ldexp_f32 v9, v9, v29
	v_fma_f32 v29, v10, s46, -v22
	v_rndne_f32_e32 v30, v22
	v_fmac_f32_e32 v29, 0x32a5705f, v10
	v_sub_f32_e32 v22, v22, v30
	v_add_f32_e32 v22, v22, v29
	v_exp_f32_e32 v22, v22
	v_cvt_i32_f32_e32 v29, v30
	v_cmp_ngt_f32_e32 vcc, s33, v11
	v_pk_add_f32 v[6:7], v[6:7], v[12:13] op_sel_hi:[1,0] neg_lo:[0,1] neg_hi:[0,1]
	v_cndmask_b32_e32 v9, 0, v9, vcc
	v_cmp_nlt_f32_e32 vcc, s44, v11
	v_ldexp_f32 v11, v22, v29
	v_mul_f32_e32 v22, 0x3fb8aa3b, v7
	v_fma_f32 v29, v7, s46, -v22
	v_rndne_f32_e32 v30, v22
	v_cndmask_b32_e32 v9, v28, v9, vcc
	v_cmp_ngt_f32_e32 vcc, s33, v10
	v_fmac_f32_e32 v29, 0x32a5705f, v7
	v_sub_f32_e32 v22, v22, v30
	v_cndmask_b32_e32 v11, 0, v11, vcc
	v_cmp_nlt_f32_e32 vcc, s44, v10
	v_add_f32_e32 v22, v22, v29
	v_cndmask_b32_e32 v11, v28, v11, vcc
	v_exp_f32_e32 v22, v22
	v_cvt_i32_f32_e32 v29, v30
	v_add_f32_e32 v10, v11, v21
	v_cndmask_b32_e64 v10, v21, v10, s[22:23]
	v_add_f32_e32 v21, v9, v10
	v_cndmask_b32_e64 v10, v10, v21, s[20:21]
	v_ldexp_f32 v21, v22, v29
	v_mul_f32_e32 v22, 0x3fb8aa3b, v6
	v_fma_f32 v29, v6, s46, -v22
	v_rndne_f32_e32 v30, v22
	v_fmac_f32_e32 v29, 0x32a5705f, v6
	v_sub_f32_e32 v22, v22, v30
	v_add_f32_e32 v22, v22, v29
	v_exp_f32_e32 v22, v22
	v_cvt_i32_f32_e32 v29, v30
	v_cmp_ngt_f32_e32 vcc, s33, v7
	v_cndmask_b32_e32 v21, 0, v21, vcc
	v_cmp_nlt_f32_e32 vcc, s44, v7
	v_pk_add_f32 v[4:5], v[4:5], v[12:13] op_sel_hi:[1,0] neg_lo:[0,1] neg_hi:[0,1]
	v_cndmask_b32_e32 v7, v28, v21, vcc
	v_ldexp_f32 v21, v22, v29
	v_mul_f32_e32 v22, 0x3fb8aa3b, v5
	v_fma_f32 v29, v5, s46, -v22
	v_rndne_f32_e32 v30, v22
	v_cmp_ngt_f32_e32 vcc, s33, v6
	v_fmac_f32_e32 v29, 0x32a5705f, v5
	v_sub_f32_e32 v22, v22, v30
	v_cndmask_b32_e32 v21, 0, v21, vcc
	v_cmp_nlt_f32_e32 vcc, s44, v6
	v_add_f32_e32 v22, v22, v29
	v_cndmask_b32_e32 v6, v28, v21, vcc
	v_exp_f32_e32 v22, v22
	v_cvt_i32_f32_e32 v29, v30
	v_add_f32_e32 v21, v6, v10
	v_cndmask_b32_e64 v10, v10, v21, s[18:19]
	v_add_f32_e32 v21, v7, v10
	v_cndmask_b32_e64 v10, v10, v21, s[16:17]
	v_ldexp_f32 v21, v22, v29
	v_mul_f32_e32 v22, 0x3fb8aa3b, v4
	v_fma_f32 v29, v4, s46, -v22
	v_rndne_f32_e32 v30, v22
	v_fmac_f32_e32 v29, 0x32a5705f, v4
	v_sub_f32_e32 v22, v22, v30
	v_add_f32_e32 v22, v22, v29
	v_exp_f32_e32 v22, v22
	v_cvt_i32_f32_e32 v29, v30
	v_cmp_ngt_f32_e32 vcc, s33, v5
	v_cndmask_b32_e32 v21, 0, v21, vcc
	v_cmp_nlt_f32_e32 vcc, s44, v5
	v_pk_add_f32 v[0:1], v[0:1], v[12:13] op_sel_hi:[1,0] neg_lo:[0,1] neg_hi:[0,1]
	v_cndmask_b32_e32 v5, v28, v21, vcc
	v_ldexp_f32 v21, v22, v29
	v_mul_f32_e32 v22, 0x3fb8aa3b, v1
	v_fma_f32 v29, v1, s46, -v22
	v_rndne_f32_e32 v30, v22
	v_cmp_ngt_f32_e32 vcc, s33, v4
	v_fmac_f32_e32 v29, 0x32a5705f, v1
	v_sub_f32_e32 v22, v22, v30
	v_cndmask_b32_e32 v21, 0, v21, vcc
	v_cmp_nlt_f32_e32 vcc, s44, v4
	v_add_f32_e32 v22, v22, v29
	v_cndmask_b32_e32 v4, v28, v21, vcc
	v_exp_f32_e32 v22, v22
	v_cvt_i32_f32_e32 v29, v30
	v_add_f32_e32 v21, v4, v10
	v_cndmask_b32_e64 v10, v10, v21, s[14:15]
	v_add_f32_e32 v21, v5, v10
	v_cndmask_b32_e64 v10, v10, v21, s[12:13]
	v_ldexp_f32 v21, v22, v29
	v_mul_f32_e32 v22, 0x3fb8aa3b, v0
	v_fma_f32 v29, v0, s46, -v22
	v_rndne_f32_e32 v30, v22
	v_fmac_f32_e32 v29, 0x32a5705f, v0
	v_sub_f32_e32 v22, v22, v30
	v_add_f32_e32 v22, v22, v29
	v_exp_f32_e32 v22, v22
	v_cvt_i32_f32_e32 v29, v30
	v_cmp_ngt_f32_e32 vcc, s33, v1
	v_cndmask_b32_e32 v21, 0, v21, vcc
	v_cmp_nlt_f32_e32 vcc, s44, v1
	v_cndmask_b32_e32 v21, v28, v21, vcc
	v_ldexp_f32 v1, v22, v29
	v_cmp_ngt_f32_e32 vcc, s33, v0
	v_cndmask_b32_e32 v1, 0, v1, vcc
	v_cmp_nlt_f32_e32 vcc, s44, v0
	v_cndmask_b32_e32 v22, v28, v1, vcc
	v_pk_add_f32 v[0:1], v[2:3], v[12:13] op_sel_hi:[1,0] neg_lo:[0,1] neg_hi:[0,1]
	v_mul_f32_e32 v2, 0x3fb8aa3b, v1
	v_fma_f32 v3, v1, s46, -v2
	v_rndne_f32_e32 v12, v2
	v_fmac_f32_e32 v3, 0x32a5705f, v1
	v_sub_f32_e32 v2, v2, v12
	v_add_f32_e32 v2, v2, v3
	v_exp_f32_e32 v2, v2
	v_cvt_i32_f32_e32 v3, v12
	v_add_f32_e32 v29, v22, v10
	v_cndmask_b32_e64 v10, v10, v29, s[10:11]
	v_add_f32_e32 v12, v21, v10
	v_ldexp_f32 v2, v2, v3
	v_mul_f32_e32 v3, 0x3fb8aa3b, v0
	v_cndmask_b32_e64 v10, v10, v12, s[8:9]
	v_fma_f32 v12, v0, s46, -v3
	v_rndne_f32_e32 v29, v3
	v_fmac_f32_e32 v12, 0x32a5705f, v0
	v_sub_f32_e32 v3, v3, v29
	v_add_f32_e32 v3, v3, v12
	v_exp_f32_e32 v3, v3
	v_cvt_i32_f32_e32 v12, v29
	v_cmp_ngt_f32_e32 vcc, s33, v1
	v_cndmask_b32_e32 v2, 0, v2, vcc
	v_cmp_nlt_f32_e32 vcc, s44, v1
	v_cndmask_b32_e32 v2, v28, v2, vcc
	v_ldexp_f32 v1, v3, v12
	v_cmp_ngt_f32_e32 vcc, s33, v0
	v_cndmask_b32_e32 v1, 0, v1, vcc
	v_cmp_nlt_f32_e32 vcc, s44, v0
	v_cndmask_b32_e32 v3, v28, v1, vcc
	v_add_f32_e32 v0, v3, v10
	v_cndmask_b32_e64 v0, v10, v0, s[6:7]
	v_add_f32_e32 v1, v2, v0
	v_cndmask_b32_e64 v0, v0, v1, s[4:5]
	ds_bpermute_b32 v1, v16, v0
	v_cndmask_b32_e64 v10, 0, v9, s[20:21]
	v_cndmask_b32_e64 v9, 0, v6, s[18:19]
	;; [unrolled: 1-line block ×4, first 2 shown]
	s_waitcnt lgkmcnt(0)
	v_add_f32_e32 v0, v0, v1
	ds_bpermute_b32 v1, v25, v0
	v_cndmask_b32_e64 v12, 0, v23, s[26:27]
	v_cndmask_b32_e64 v11, 0, v11, s[22:23]
	;; [unrolled: 1-line block ×4, first 2 shown]
	s_waitcnt lgkmcnt(0)
	v_add_f32_e32 v0, v0, v1
	ds_bpermute_b32 v1, v26, v0
	buffer_store_dword v19, off, s[0:3], 0 offset:88
	buffer_store_dword v17, off, s[0:3], 0 offset:92
	;; [unrolled: 1-line block ×8, first 2 shown]
	s_waitcnt lgkmcnt(0)
	v_add_f32_e32 v0, v0, v1
	ds_bpermute_b32 v16, v27, v0
	v_cndmask_b32_e64 v1, 0, v21, s[8:9]
	buffer_store_dword v9, off, s[0:3], 0 offset:120
	buffer_store_dword v7, off, s[0:3], 0 offset:124
	;; [unrolled: 1-line block ×6, first 2 shown]
	s_waitcnt lgkmcnt(0)
	v_add_f32_e32 v16, v0, v16
	ds_bpermute_b32 v21, v24, v16
	v_cndmask_b32_e64 v0, 0, v2, s[4:5]
	v_cndmask_b32_e64 v2, 0, v3, s[6:7]
	buffer_store_dword v2, off, s[0:3], 0 offset:144
	buffer_store_dword v0, off, s[0:3], 0 offset:148
	s_waitcnt lgkmcnt(0)
	v_add_f32_e32 v16, v16, v21
	v_div_scale_f32 v21, s[48:49], v16, v16, 1.0
	v_rcp_f32_e32 v22, v21
	v_fma_f32 v3, -v21, v22, 1.0
	v_fmac_f32_e32 v22, v3, v22
	v_div_scale_f32 v3, vcc, 1.0, v16, 1.0
	v_mul_f32_e32 v23, v3, v22
	v_fma_f32 v24, -v21, v23, v3
	v_fmac_f32_e32 v23, v24, v22
	v_fma_f32 v3, -v21, v23, v3
	v_div_fmas_f32 v3, v3, v22, v23
	v_div_fixup_f32 v3, v3, v16, 1.0
	s_and_saveexec_b64 s[48:49], s[40:41]
	s_cbranch_execnz .LBB21_135
; %bb.59:
	s_or_b64 exec, exec, s[48:49]
	s_and_saveexec_b64 s[40:41], s[38:39]
	s_cbranch_execnz .LBB21_136
.LBB21_60:
	s_or_b64 exec, exec, s[40:41]
	s_and_saveexec_b64 s[38:39], s[36:37]
	s_cbranch_execnz .LBB21_137
.LBB21_61:
	s_or_b64 exec, exec, s[38:39]
	s_and_saveexec_b64 s[36:37], s[34:35]
	s_cbranch_execnz .LBB21_138
.LBB21_62:
	s_or_b64 exec, exec, s[36:37]
	s_and_saveexec_b64 s[34:35], s[30:31]
	s_cbranch_execnz .LBB21_139
.LBB21_63:
	s_or_b64 exec, exec, s[34:35]
	s_and_saveexec_b64 s[30:31], s[28:29]
	s_cbranch_execnz .LBB21_140
.LBB21_64:
	s_or_b64 exec, exec, s[30:31]
	s_and_saveexec_b64 s[28:29], s[26:27]
	s_cbranch_execnz .LBB21_141
.LBB21_65:
	s_or_b64 exec, exec, s[28:29]
	s_and_saveexec_b64 s[26:27], s[24:25]
	s_cbranch_execnz .LBB21_142
.LBB21_66:
	s_or_b64 exec, exec, s[26:27]
	s_and_saveexec_b64 s[24:25], s[22:23]
	s_cbranch_execnz .LBB21_143
.LBB21_67:
	s_or_b64 exec, exec, s[24:25]
	s_and_saveexec_b64 s[22:23], s[20:21]
	s_cbranch_execnz .LBB21_144
.LBB21_68:
	s_or_b64 exec, exec, s[22:23]
	s_and_saveexec_b64 s[20:21], s[18:19]
	s_cbranch_execnz .LBB21_145
.LBB21_69:
	s_or_b64 exec, exec, s[20:21]
	s_and_saveexec_b64 s[18:19], s[16:17]
	s_cbranch_execnz .LBB21_146
.LBB21_70:
	s_or_b64 exec, exec, s[18:19]
	s_and_saveexec_b64 s[16:17], s[14:15]
	s_cbranch_execnz .LBB21_147
.LBB21_71:
	s_or_b64 exec, exec, s[16:17]
	s_and_saveexec_b64 s[14:15], s[12:13]
	s_cbranch_execnz .LBB21_148
.LBB21_72:
	s_or_b64 exec, exec, s[14:15]
	s_and_saveexec_b64 s[12:13], s[10:11]
	s_cbranch_execnz .LBB21_149
.LBB21_73:
	s_or_b64 exec, exec, s[12:13]
	s_and_saveexec_b64 s[10:11], s[8:9]
	s_cbranch_execnz .LBB21_150
.LBB21_74:
	s_or_b64 exec, exec, s[10:11]
	s_and_saveexec_b64 s[8:9], s[6:7]
	s_cbranch_execnz .LBB21_151
.LBB21_75:
	s_or_b64 exec, exec, s[8:9]
	s_and_saveexec_b64 s[6:7], s[4:5]
	s_cbranch_execz .LBB21_77
.LBB21_76:
	v_mul_f32_e32 v0, v0, v3
	buffer_store_dword v0, off, s[0:3], 0 offset:148
.LBB21_77:
	s_or_b64 exec, exec, s[6:7]
.LBB21_78:
	v_mul_lo_u32 v0, v71, s45
	v_ashrrev_i32_e32 v1, 31, v0
	v_lshlrev_b64 v[0:1], 2, v[0:1]
	v_mov_b32_e32 v2, s43
	v_add_co_u32_e32 v0, vcc, s42, v0
	v_addc_co_u32_e32 v1, vcc, v2, v1, vcc
	v_cmp_gt_i32_e32 vcc, s45, v72
	s_and_saveexec_b64 s[4:5], vcc
	s_cbranch_execnz .LBB21_98
; %bb.79:
	s_or_b64 exec, exec, s[4:5]
	v_cmp_gt_i32_e32 vcc, s45, v13
	s_and_saveexec_b64 s[4:5], vcc
	s_cbranch_execnz .LBB21_99
.LBB21_80:
	s_or_b64 exec, exec, s[4:5]
	v_cmp_gt_i32_e32 vcc, s45, v70
	s_and_saveexec_b64 s[4:5], vcc
	s_cbranch_execnz .LBB21_100
.LBB21_81:
	s_or_b64 exec, exec, s[4:5]
	v_cmp_gt_i32_e32 vcc, s45, v66
	s_and_saveexec_b64 s[4:5], vcc
	s_cbranch_execnz .LBB21_101
.LBB21_82:
	s_or_b64 exec, exec, s[4:5]
	v_cmp_gt_i32_e32 vcc, s45, v67
	s_and_saveexec_b64 s[4:5], vcc
	s_cbranch_execnz .LBB21_102
.LBB21_83:
	s_or_b64 exec, exec, s[4:5]
	v_cmp_gt_i32_e32 vcc, s45, v62
	s_and_saveexec_b64 s[4:5], vcc
	s_cbranch_execnz .LBB21_103
.LBB21_84:
	s_or_b64 exec, exec, s[4:5]
	v_cmp_gt_i32_e32 vcc, s45, v63
	s_and_saveexec_b64 s[4:5], vcc
	s_cbranch_execnz .LBB21_104
.LBB21_85:
	s_or_b64 exec, exec, s[4:5]
	v_cmp_gt_i32_e32 vcc, s45, v57
	s_and_saveexec_b64 s[4:5], vcc
	s_cbranch_execnz .LBB21_105
.LBB21_86:
	s_or_b64 exec, exec, s[4:5]
	v_cmp_gt_i32_e32 vcc, s45, v61
	s_and_saveexec_b64 s[4:5], vcc
	s_cbranch_execnz .LBB21_106
.LBB21_87:
	s_or_b64 exec, exec, s[4:5]
	v_cmp_gt_i32_e32 vcc, s45, v55
	s_and_saveexec_b64 s[4:5], vcc
	s_cbranch_execnz .LBB21_107
.LBB21_88:
	s_or_b64 exec, exec, s[4:5]
	v_cmp_gt_i32_e32 vcc, s45, v56
	s_and_saveexec_b64 s[4:5], vcc
	s_cbranch_execnz .LBB21_108
.LBB21_89:
	s_or_b64 exec, exec, s[4:5]
	v_cmp_gt_i32_e32 vcc, s45, v50
	s_and_saveexec_b64 s[4:5], vcc
	s_cbranch_execnz .LBB21_109
.LBB21_90:
	s_or_b64 exec, exec, s[4:5]
	v_cmp_gt_i32_e32 vcc, s45, v51
	s_and_saveexec_b64 s[4:5], vcc
	s_cbranch_execnz .LBB21_110
.LBB21_91:
	s_or_b64 exec, exec, s[4:5]
	v_cmp_gt_i32_e32 vcc, s45, v45
	s_and_saveexec_b64 s[4:5], vcc
	s_cbranch_execnz .LBB21_111
.LBB21_92:
	s_or_b64 exec, exec, s[4:5]
	v_cmp_gt_i32_e32 vcc, s45, v47
	s_and_saveexec_b64 s[4:5], vcc
	s_cbranch_execnz .LBB21_112
.LBB21_93:
	s_or_b64 exec, exec, s[4:5]
	v_cmp_gt_i32_e32 vcc, s45, v41
	s_and_saveexec_b64 s[4:5], vcc
	s_cbranch_execnz .LBB21_113
.LBB21_94:
	s_or_b64 exec, exec, s[4:5]
	v_cmp_gt_i32_e32 vcc, s45, v46
	s_and_saveexec_b64 s[4:5], vcc
	s_cbranch_execnz .LBB21_114
.LBB21_95:
	s_or_b64 exec, exec, s[4:5]
	v_cmp_gt_i32_e32 vcc, s45, v40
	s_and_b64 exec, exec, vcc
	s_cbranch_execz .LBB21_97
.LBB21_96:
	buffer_load_dword v2, off, s[0:3], 0 offset:148
	v_add_co_u32_e32 v0, vcc, v0, v38
	v_addc_co_u32_e32 v1, vcc, 0, v1, vcc
	s_waitcnt vmcnt(0)
	v_mul_f32_e32 v2, s47, v2
	global_store_dword v[0:1], v2, off
.LBB21_97:
	s_endpgm
.LBB21_98:
	buffer_load_dword v4, off, s[0:3], 0 offset:80
	v_add_co_u32_e32 v2, vcc, v0, v69
	v_addc_co_u32_e32 v3, vcc, 0, v1, vcc
	s_waitcnt vmcnt(0)
	v_mul_f32_e32 v4, s47, v4
	global_store_dword v[2:3], v4, off
	s_or_b64 exec, exec, s[4:5]
	v_cmp_gt_i32_e32 vcc, s45, v13
	s_and_saveexec_b64 s[4:5], vcc
	s_cbranch_execz .LBB21_80
.LBB21_99:
	buffer_load_dword v4, off, s[0:3], 0 offset:84
	v_add_co_u32_e32 v2, vcc, v0, v69
	v_addc_co_u32_e32 v3, vcc, 0, v1, vcc
	s_waitcnt vmcnt(0)
	v_mul_f32_e32 v4, s47, v4
	global_store_dword v[2:3], v4, off offset:128
	s_or_b64 exec, exec, s[4:5]
	v_cmp_gt_i32_e32 vcc, s45, v70
	s_and_saveexec_b64 s[4:5], vcc
	s_cbranch_execz .LBB21_81
.LBB21_100:
	buffer_load_dword v4, off, s[0:3], 0 offset:88
	v_add_co_u32_e32 v2, vcc, v0, v68
	v_addc_co_u32_e32 v3, vcc, 0, v1, vcc
	s_waitcnt vmcnt(0)
	v_mul_f32_e32 v4, s47, v4
	global_store_dword v[2:3], v4, off
	s_or_b64 exec, exec, s[4:5]
	v_cmp_gt_i32_e32 vcc, s45, v66
	s_and_saveexec_b64 s[4:5], vcc
	s_cbranch_execz .LBB21_82
.LBB21_101:
	buffer_load_dword v4, off, s[0:3], 0 offset:92
	v_add_co_u32_e32 v2, vcc, v0, v65
	v_addc_co_u32_e32 v3, vcc, 0, v1, vcc
	s_waitcnt vmcnt(0)
	v_mul_f32_e32 v4, s47, v4
	global_store_dword v[2:3], v4, off
	s_or_b64 exec, exec, s[4:5]
	v_cmp_gt_i32_e32 vcc, s45, v67
	s_and_saveexec_b64 s[4:5], vcc
	s_cbranch_execz .LBB21_83
.LBB21_102:
	buffer_load_dword v4, off, s[0:3], 0 offset:96
	v_add_co_u32_e32 v2, vcc, v0, v64
	v_addc_co_u32_e32 v3, vcc, 0, v1, vcc
	s_waitcnt vmcnt(0)
	v_mul_f32_e32 v4, s47, v4
	global_store_dword v[2:3], v4, off
	s_or_b64 exec, exec, s[4:5]
	v_cmp_gt_i32_e32 vcc, s45, v62
	s_and_saveexec_b64 s[4:5], vcc
	s_cbranch_execz .LBB21_84
.LBB21_103:
	buffer_load_dword v4, off, s[0:3], 0 offset:100
	v_add_co_u32_e32 v2, vcc, v0, v60
	v_addc_co_u32_e32 v3, vcc, 0, v1, vcc
	s_waitcnt vmcnt(0)
	v_mul_f32_e32 v4, s47, v4
	global_store_dword v[2:3], v4, off
	s_or_b64 exec, exec, s[4:5]
	v_cmp_gt_i32_e32 vcc, s45, v63
	s_and_saveexec_b64 s[4:5], vcc
	s_cbranch_execz .LBB21_85
.LBB21_104:
	buffer_load_dword v4, off, s[0:3], 0 offset:104
	v_add_co_u32_e32 v2, vcc, v0, v59
	v_addc_co_u32_e32 v3, vcc, 0, v1, vcc
	s_waitcnt vmcnt(0)
	v_mul_f32_e32 v4, s47, v4
	global_store_dword v[2:3], v4, off
	s_or_b64 exec, exec, s[4:5]
	v_cmp_gt_i32_e32 vcc, s45, v57
	s_and_saveexec_b64 s[4:5], vcc
	s_cbranch_execz .LBB21_86
.LBB21_105:
	buffer_load_dword v4, off, s[0:3], 0 offset:108
	v_add_co_u32_e32 v2, vcc, v0, v54
	v_addc_co_u32_e32 v3, vcc, 0, v1, vcc
	s_waitcnt vmcnt(0)
	v_mul_f32_e32 v4, s47, v4
	global_store_dword v[2:3], v4, off
	s_or_b64 exec, exec, s[4:5]
	v_cmp_gt_i32_e32 vcc, s45, v61
	s_and_saveexec_b64 s[4:5], vcc
	s_cbranch_execz .LBB21_87
.LBB21_106:
	buffer_load_dword v4, off, s[0:3], 0 offset:112
	v_add_co_u32_e32 v2, vcc, v0, v58
	v_addc_co_u32_e32 v3, vcc, 0, v1, vcc
	s_waitcnt vmcnt(0)
	v_mul_f32_e32 v4, s47, v4
	global_store_dword v[2:3], v4, off
	s_or_b64 exec, exec, s[4:5]
	v_cmp_gt_i32_e32 vcc, s45, v55
	s_and_saveexec_b64 s[4:5], vcc
	s_cbranch_execz .LBB21_88
.LBB21_107:
	buffer_load_dword v4, off, s[0:3], 0 offset:116
	v_add_co_u32_e32 v2, vcc, v0, v53
	v_addc_co_u32_e32 v3, vcc, 0, v1, vcc
	s_waitcnt vmcnt(0)
	v_mul_f32_e32 v4, s47, v4
	global_store_dword v[2:3], v4, off
	s_or_b64 exec, exec, s[4:5]
	v_cmp_gt_i32_e32 vcc, s45, v56
	s_and_saveexec_b64 s[4:5], vcc
	s_cbranch_execz .LBB21_89
.LBB21_108:
	buffer_load_dword v4, off, s[0:3], 0 offset:120
	v_add_co_u32_e32 v2, vcc, v0, v52
	v_addc_co_u32_e32 v3, vcc, 0, v1, vcc
	s_waitcnt vmcnt(0)
	v_mul_f32_e32 v4, s47, v4
	global_store_dword v[2:3], v4, off
	s_or_b64 exec, exec, s[4:5]
	v_cmp_gt_i32_e32 vcc, s45, v50
	s_and_saveexec_b64 s[4:5], vcc
	s_cbranch_execz .LBB21_90
.LBB21_109:
	buffer_load_dword v4, off, s[0:3], 0 offset:124
	v_add_co_u32_e32 v2, vcc, v0, v49
	v_addc_co_u32_e32 v3, vcc, 0, v1, vcc
	s_waitcnt vmcnt(0)
	v_mul_f32_e32 v4, s47, v4
	global_store_dword v[2:3], v4, off
	s_or_b64 exec, exec, s[4:5]
	v_cmp_gt_i32_e32 vcc, s45, v51
	s_and_saveexec_b64 s[4:5], vcc
	s_cbranch_execz .LBB21_91
.LBB21_110:
	buffer_load_dword v4, off, s[0:3], 0 offset:128
	v_add_co_u32_e32 v2, vcc, v0, v48
	v_addc_co_u32_e32 v3, vcc, 0, v1, vcc
	s_waitcnt vmcnt(0)
	v_mul_f32_e32 v4, s47, v4
	global_store_dword v[2:3], v4, off
	s_or_b64 exec, exec, s[4:5]
	v_cmp_gt_i32_e32 vcc, s45, v45
	s_and_saveexec_b64 s[4:5], vcc
	s_cbranch_execz .LBB21_92
.LBB21_111:
	buffer_load_dword v4, off, s[0:3], 0 offset:132
	v_add_co_u32_e32 v2, vcc, v0, v44
	v_addc_co_u32_e32 v3, vcc, 0, v1, vcc
	s_waitcnt vmcnt(0)
	v_mul_f32_e32 v4, s47, v4
	global_store_dword v[2:3], v4, off
	s_or_b64 exec, exec, s[4:5]
	v_cmp_gt_i32_e32 vcc, s45, v47
	s_and_saveexec_b64 s[4:5], vcc
	s_cbranch_execz .LBB21_93
.LBB21_112:
	buffer_load_dword v4, off, s[0:3], 0 offset:136
	v_add_co_u32_e32 v2, vcc, v0, v43
	v_addc_co_u32_e32 v3, vcc, 0, v1, vcc
	s_waitcnt vmcnt(0)
	v_mul_f32_e32 v4, s47, v4
	global_store_dword v[2:3], v4, off
	s_or_b64 exec, exec, s[4:5]
	v_cmp_gt_i32_e32 vcc, s45, v41
	s_and_saveexec_b64 s[4:5], vcc
	s_cbranch_execz .LBB21_94
.LBB21_113:
	buffer_load_dword v4, off, s[0:3], 0 offset:140
	v_add_co_u32_e32 v2, vcc, v0, v39
	v_addc_co_u32_e32 v3, vcc, 0, v1, vcc
	s_waitcnt vmcnt(0)
	v_mul_f32_e32 v4, s47, v4
	global_store_dword v[2:3], v4, off
	s_or_b64 exec, exec, s[4:5]
	v_cmp_gt_i32_e32 vcc, s45, v46
	s_and_saveexec_b64 s[4:5], vcc
	s_cbranch_execz .LBB21_95
.LBB21_114:
	buffer_load_dword v4, off, s[0:3], 0 offset:144
	v_add_co_u32_e32 v2, vcc, v0, v42
	v_addc_co_u32_e32 v3, vcc, 0, v1, vcc
	s_waitcnt vmcnt(0)
	v_mul_f32_e32 v4, s47, v4
	global_store_dword v[2:3], v4, off
	s_or_b64 exec, exec, s[4:5]
	v_cmp_gt_i32_e32 vcc, s45, v40
	s_and_b64 exec, exec, vcc
	s_cbranch_execnz .LBB21_96
	s_branch .LBB21_97
.LBB21_115:
                                        ; implicit-def: $vgpr20_vgpr21
                                        ; implicit-def: $vgpr22_vgpr23
                                        ; implicit-def: $vgpr24_vgpr25
                                        ; implicit-def: $vgpr26_vgpr27
                                        ; implicit-def: $vgpr28_vgpr29
                                        ; implicit-def: $vgpr34_vgpr35
                                        ; implicit-def: $vgpr36_vgpr37
                                        ; implicit-def: $vgpr32_vgpr33
                                        ; implicit-def: $vgpr30_vgpr31
.LBB21_116:
	v_mul_f32_e32 v20, 0xbfb8aa3b, v19
	s_mov_b32 s4, 0xbfb8aa3b
	v_rndne_f32_e32 v21, v20
	v_sub_f32_e32 v22, v20, v21
	v_fma_f32 v20, v19, s4, -v20
	v_fmac_f32_e32 v20, 0xb2a5705f, v19
	v_add_f32_e32 v20, v22, v20
	v_exp_f32_e32 v20, v20
	v_cvt_i32_f32_e32 v21, v21
	s_mov_b32 s5, 0x42ce8ed0
	v_cmp_nlt_f32_e32 vcc, s5, v19
	s_mov_b32 s10, 0xc2b17218
	v_ldexp_f32 v20, v20, v21
	v_mul_f32_e32 v21, 0xbfb8aa3b, v18
	v_rndne_f32_e32 v22, v21
	v_sub_f32_e32 v23, v21, v22
	v_fma_f32 v21, v18, s4, -v21
	v_fmac_f32_e32 v21, 0xb2a5705f, v18
	v_add_f32_e32 v21, v23, v21
	v_exp_f32_e32 v21, v21
	v_cvt_i32_f32_e32 v22, v22
	v_cndmask_b32_e32 v20, 0, v20, vcc
	v_mov_b32_e32 v30, 0x7f800000
	v_cmp_ngt_f32_e32 vcc, s10, v19
	v_cndmask_b32_e32 v19, v30, v20, vcc
	v_ldexp_f32 v20, v21, v22
	v_cmp_nlt_f32_e32 vcc, s5, v18
	v_cndmask_b32_e32 v20, 0, v20, vcc
	v_cmp_ngt_f32_e32 vcc, s10, v18
	v_cndmask_b32_e32 v18, v30, v20, vcc
	v_pk_add_f32 v[18:19], v[18:19], 1.0 op_sel_hi:[1,0]
	v_div_scale_f32 v20, s[12:13], v19, v19, 1.0
	v_rcp_f32_e32 v21, v20
	v_fma_f32 v22, -v20, v21, 1.0
	v_fmac_f32_e32 v21, v22, v21
	v_div_scale_f32 v22, vcc, 1.0, v19, 1.0
	v_mul_f32_e32 v23, v22, v21
	v_fma_f32 v24, -v20, v23, v22
	v_fmac_f32_e32 v23, v24, v21
	v_fma_f32 v20, -v20, v23, v22
	v_div_scale_f32 v22, s[12:13], v18, v18, 1.0
	v_rcp_f32_e32 v24, v22
	v_div_fmas_f32 v20, v20, v21, v23
	v_div_fixup_f32 v21, v20, v19, 1.0
	v_fma_f32 v19, -v22, v24, 1.0
	v_fmac_f32_e32 v24, v19, v24
	v_div_scale_f32 v19, vcc, 1.0, v18, 1.0
	v_mul_f32_e32 v20, v19, v24
	v_fma_f32 v23, -v22, v20, v19
	v_fmac_f32_e32 v20, v23, v24
	v_mul_f32_e32 v23, 0xbfb8aa3b, v17
	v_rndne_f32_e32 v25, v23
	v_sub_f32_e32 v26, v23, v25
	v_fma_f32 v23, v17, s4, -v23
	v_fmac_f32_e32 v23, 0xb2a5705f, v17
	v_add_f32_e32 v23, v26, v23
	v_exp_f32_e32 v23, v23
	v_cvt_i32_f32_e32 v25, v25
	v_fma_f32 v19, -v22, v20, v19
	v_mul_f32_e32 v22, 0xbfb8aa3b, v16
	v_div_fmas_f32 v19, v19, v24, v20
	v_ldexp_f32 v20, v23, v25
	v_rndne_f32_e32 v23, v22
	v_sub_f32_e32 v24, v22, v23
	v_fma_f32 v22, v16, s4, -v22
	v_fmac_f32_e32 v22, 0xb2a5705f, v16
	v_add_f32_e32 v22, v24, v22
	v_exp_f32_e32 v22, v22
	v_cvt_i32_f32_e32 v23, v23
	v_cmp_nlt_f32_e32 vcc, s5, v17
	v_cndmask_b32_e32 v20, 0, v20, vcc
	v_cmp_ngt_f32_e32 vcc, s10, v17
	v_cndmask_b32_e32 v17, v30, v20, vcc
	v_ldexp_f32 v20, v22, v23
	v_cmp_nlt_f32_e32 vcc, s5, v16
	v_cndmask_b32_e32 v20, 0, v20, vcc
	v_cmp_ngt_f32_e32 vcc, s10, v16
	v_cndmask_b32_e32 v16, v30, v20, vcc
	v_pk_add_f32 v[16:17], v[16:17], 1.0 op_sel_hi:[1,0]
	v_div_scale_f32 v22, s[12:13], v17, v17, 1.0
	v_rcp_f32_e32 v23, v22
	v_div_fixup_f32 v20, v19, v18, 1.0
	buffer_store_dword v21, off, s[0:3], 0 offset:4
	buffer_store_dword v20, off, s[0:3], 0
	v_fma_f32 v18, -v22, v23, 1.0
	v_fmac_f32_e32 v23, v18, v23
	v_div_scale_f32 v18, vcc, 1.0, v17, 1.0
	v_mul_f32_e32 v19, v18, v23
	v_fma_f32 v24, -v22, v19, v18
	v_fmac_f32_e32 v19, v24, v23
	v_fma_f32 v18, -v22, v19, v18
	v_div_scale_f32 v22, s[12:13], v16, v16, 1.0
	v_rcp_f32_e32 v24, v22
	v_div_fmas_f32 v18, v18, v23, v19
	v_div_fixup_f32 v23, v18, v17, 1.0
	v_fma_f32 v17, -v22, v24, 1.0
	v_fmac_f32_e32 v24, v17, v24
	v_div_scale_f32 v17, vcc, 1.0, v16, 1.0
	v_mul_f32_e32 v18, v17, v24
	v_fma_f32 v19, -v22, v18, v17
	v_fmac_f32_e32 v18, v19, v24
	v_mul_f32_e32 v19, 0xbfb8aa3b, v15
	v_rndne_f32_e32 v25, v19
	v_sub_f32_e32 v26, v19, v25
	v_fma_f32 v19, v15, s4, -v19
	v_fmac_f32_e32 v19, 0xb2a5705f, v15
	v_add_f32_e32 v19, v26, v19
	v_exp_f32_e32 v19, v19
	v_cvt_i32_f32_e32 v25, v25
	v_fma_f32 v17, -v22, v18, v17
	v_div_fmas_f32 v17, v17, v24, v18
	v_cmp_nlt_f32_e32 vcc, s5, v15
	v_ldexp_f32 v18, v19, v25
	v_mul_f32_e32 v19, 0xbfb8aa3b, v14
	v_rndne_f32_e32 v22, v19
	v_sub_f32_e32 v24, v19, v22
	v_fma_f32 v19, v14, s4, -v19
	v_fmac_f32_e32 v19, 0xb2a5705f, v14
	v_add_f32_e32 v19, v24, v19
	v_exp_f32_e32 v19, v19
	v_cvt_i32_f32_e32 v22, v22
	v_cndmask_b32_e32 v18, 0, v18, vcc
	v_cmp_ngt_f32_e32 vcc, s10, v15
	v_cndmask_b32_e32 v15, v30, v18, vcc
	v_ldexp_f32 v18, v19, v22
	v_cmp_nlt_f32_e32 vcc, s5, v14
	v_cndmask_b32_e32 v18, 0, v18, vcc
	v_cmp_ngt_f32_e32 vcc, s10, v14
	v_cndmask_b32_e32 v14, v30, v18, vcc
	v_pk_add_f32 v[14:15], v[14:15], 1.0 op_sel_hi:[1,0]
	v_div_scale_f32 v18, s[12:13], v15, v15, 1.0
	v_rcp_f32_e32 v19, v18
	v_div_fixup_f32 v22, v17, v16, 1.0
	buffer_store_dword v23, off, s[0:3], 0 offset:12
	buffer_store_dword v22, off, s[0:3], 0 offset:8
	v_fma_f32 v16, -v18, v19, 1.0
	v_fmac_f32_e32 v19, v16, v19
	v_div_scale_f32 v16, vcc, 1.0, v15, 1.0
	v_mul_f32_e32 v17, v16, v19
	v_fma_f32 v24, -v18, v17, v16
	v_fmac_f32_e32 v17, v24, v19
	v_fma_f32 v16, -v18, v17, v16
	v_div_scale_f32 v18, s[12:13], v14, v14, 1.0
	v_rcp_f32_e32 v24, v18
	v_div_fmas_f32 v16, v16, v19, v17
	v_div_fixup_f32 v25, v16, v15, 1.0
	v_fma_f32 v15, -v18, v24, 1.0
	v_fmac_f32_e32 v24, v15, v24
	v_div_scale_f32 v15, vcc, 1.0, v14, 1.0
	v_mul_f32_e32 v16, v15, v24
	v_fma_f32 v17, -v18, v16, v15
	v_fmac_f32_e32 v16, v17, v24
	v_mul_f32_e32 v17, 0xbfb8aa3b, v13
	v_rndne_f32_e32 v19, v17
	v_sub_f32_e32 v26, v17, v19
	v_fma_f32 v17, v13, s4, -v17
	v_fmac_f32_e32 v17, 0xb2a5705f, v13
	v_add_f32_e32 v17, v26, v17
	v_exp_f32_e32 v17, v17
	v_cvt_i32_f32_e32 v19, v19
	v_fma_f32 v15, -v18, v16, v15
	v_div_fmas_f32 v15, v15, v24, v16
	v_cmp_nlt_f32_e32 vcc, s5, v13
	v_ldexp_f32 v16, v17, v19
	v_mul_f32_e32 v17, 0xbfb8aa3b, v12
	v_rndne_f32_e32 v18, v17
	v_sub_f32_e32 v19, v17, v18
	v_fma_f32 v17, v12, s4, -v17
	v_fmac_f32_e32 v17, 0xb2a5705f, v12
	v_add_f32_e32 v17, v19, v17
	v_exp_f32_e32 v17, v17
	v_cvt_i32_f32_e32 v18, v18
	v_cndmask_b32_e32 v16, 0, v16, vcc
	v_cmp_ngt_f32_e32 vcc, s10, v13
	v_cndmask_b32_e32 v13, v30, v16, vcc
	v_ldexp_f32 v16, v17, v18
	v_cmp_nlt_f32_e32 vcc, s5, v12
	v_cndmask_b32_e32 v16, 0, v16, vcc
	v_cmp_ngt_f32_e32 vcc, s10, v12
	v_cndmask_b32_e32 v12, v30, v16, vcc
	v_pk_add_f32 v[12:13], v[12:13], 1.0 op_sel_hi:[1,0]
	v_div_scale_f32 v16, s[12:13], v13, v13, 1.0
	v_rcp_f32_e32 v17, v16
	v_div_fixup_f32 v24, v15, v14, 1.0
	buffer_store_dword v25, off, s[0:3], 0 offset:20
	buffer_store_dword v24, off, s[0:3], 0 offset:16
	;; [unrolled: 51-line block ×7, first 2 shown]
	v_fma_f32 v4, -v6, v7, 1.0
	v_fmac_f32_e32 v7, v4, v7
	v_div_scale_f32 v4, vcc, 1.0, v1, 1.0
	v_mul_f32_e32 v5, v4, v7
	v_fma_f32 v8, -v6, v5, v4
	v_fmac_f32_e32 v5, v8, v7
	v_fma_f32 v4, -v6, v5, v4
	v_div_scale_f32 v6, s[4:5], v0, v0, 1.0
	v_rcp_f32_e32 v8, v6
	v_div_fmas_f32 v4, v4, v7, v5
	v_div_fixup_f32 v31, v4, v1, 1.0
	v_fma_f32 v1, -v6, v8, 1.0
	v_fmac_f32_e32 v8, v1, v8
	v_div_scale_f32 v1, vcc, 1.0, v0, 1.0
	v_mul_f32_e32 v4, v1, v8
	v_fma_f32 v5, -v6, v4, v1
	v_fmac_f32_e32 v4, v5, v8
	v_fma_f32 v1, -v6, v4, v1
	v_div_fmas_f32 v1, v1, v8, v4
	v_div_fixup_f32 v30, v1, v0, 1.0
.LBB21_117:
	v_pk_mov_b32 v[18:19], v[20:21], v[20:21] op_sel:[0,1]
	v_pk_mov_b32 v[16:17], v[22:23], v[22:23] op_sel:[0,1]
	v_pk_mov_b32 v[14:15], v[24:25], v[24:25] op_sel:[0,1]
	v_pk_mov_b32 v[12:13], v[26:27], v[26:27] op_sel:[0,1]
	v_pk_mov_b32 v[10:11], v[28:29], v[28:29] op_sel:[0,1]
	v_pk_mov_b32 v[8:9], v[34:35], v[34:35] op_sel:[0,1]
	v_pk_mov_b32 v[6:7], v[36:37], v[36:37] op_sel:[0,1]
	v_pk_mov_b32 v[4:5], v[32:33], v[32:33] op_sel:[0,1]
	v_pk_mov_b32 v[0:1], v[30:31], v[30:31] op_sel:[0,1]
	buffer_store_dword v30, off, s[0:3], 0 offset:64
	buffer_store_dword v31, off, s[0:3], 0 offset:68
	v_cmp_u_f32_e32 vcc, v18, v18
	s_and_saveexec_b64 s[4:5], vcc
	s_cbranch_execz .LBB21_3
.LBB21_118:
	v_mov_b32_e32 v18, 0xff7fffff
	buffer_store_dword v18, off, s[0:3], 0
	s_or_b64 exec, exec, s[4:5]
	v_cmp_u_f32_e32 vcc, v19, v19
	s_and_saveexec_b64 s[4:5], vcc
	s_cbranch_execz .LBB21_4
.LBB21_119:
	v_mov_b32_e32 v18, 0xff7fffff
	buffer_store_dword v18, off, s[0:3], 0 offset:4
	s_or_b64 exec, exec, s[4:5]
	v_cmp_u_f32_e32 vcc, v16, v16
	s_and_saveexec_b64 s[4:5], vcc
	s_cbranch_execz .LBB21_5
.LBB21_120:
	v_mov_b32_e32 v16, 0xff7fffff
	buffer_store_dword v16, off, s[0:3], 0 offset:8
	s_or_b64 exec, exec, s[4:5]
	v_cmp_u_f32_e32 vcc, v17, v17
	s_and_saveexec_b64 s[4:5], vcc
	s_cbranch_execz .LBB21_6
.LBB21_121:
	v_mov_b32_e32 v16, 0xff7fffff
	buffer_store_dword v16, off, s[0:3], 0 offset:12
	s_or_b64 exec, exec, s[4:5]
	v_cmp_u_f32_e32 vcc, v14, v14
	s_and_saveexec_b64 s[4:5], vcc
	s_cbranch_execz .LBB21_7
.LBB21_122:
	v_mov_b32_e32 v14, 0xff7fffff
	buffer_store_dword v14, off, s[0:3], 0 offset:16
	s_or_b64 exec, exec, s[4:5]
	v_cmp_u_f32_e32 vcc, v15, v15
	s_and_saveexec_b64 s[4:5], vcc
	s_cbranch_execz .LBB21_8
.LBB21_123:
	v_mov_b32_e32 v14, 0xff7fffff
	buffer_store_dword v14, off, s[0:3], 0 offset:20
	s_or_b64 exec, exec, s[4:5]
	v_cmp_u_f32_e32 vcc, v12, v12
	s_and_saveexec_b64 s[4:5], vcc
	s_cbranch_execz .LBB21_9
.LBB21_124:
	v_mov_b32_e32 v12, 0xff7fffff
	buffer_store_dword v12, off, s[0:3], 0 offset:24
	s_or_b64 exec, exec, s[4:5]
	v_cmp_u_f32_e32 vcc, v13, v13
	s_and_saveexec_b64 s[4:5], vcc
	s_cbranch_execz .LBB21_10
.LBB21_125:
	v_mov_b32_e32 v12, 0xff7fffff
	buffer_store_dword v12, off, s[0:3], 0 offset:28
	s_or_b64 exec, exec, s[4:5]
	v_cmp_u_f32_e32 vcc, v10, v10
	s_and_saveexec_b64 s[4:5], vcc
	s_cbranch_execz .LBB21_11
.LBB21_126:
	v_mov_b32_e32 v10, 0xff7fffff
	buffer_store_dword v10, off, s[0:3], 0 offset:32
	s_or_b64 exec, exec, s[4:5]
	v_cmp_u_f32_e32 vcc, v11, v11
	s_and_saveexec_b64 s[4:5], vcc
	s_cbranch_execz .LBB21_12
.LBB21_127:
	v_mov_b32_e32 v10, 0xff7fffff
	buffer_store_dword v10, off, s[0:3], 0 offset:36
	s_or_b64 exec, exec, s[4:5]
	v_cmp_u_f32_e32 vcc, v8, v8
	s_and_saveexec_b64 s[4:5], vcc
	s_cbranch_execz .LBB21_13
.LBB21_128:
	v_mov_b32_e32 v8, 0xff7fffff
	buffer_store_dword v8, off, s[0:3], 0 offset:40
	s_or_b64 exec, exec, s[4:5]
	v_cmp_u_f32_e32 vcc, v9, v9
	s_and_saveexec_b64 s[4:5], vcc
	s_cbranch_execz .LBB21_14
.LBB21_129:
	v_mov_b32_e32 v8, 0xff7fffff
	buffer_store_dword v8, off, s[0:3], 0 offset:44
	s_or_b64 exec, exec, s[4:5]
	v_cmp_u_f32_e32 vcc, v6, v6
	s_and_saveexec_b64 s[4:5], vcc
	s_cbranch_execz .LBB21_15
.LBB21_130:
	v_mov_b32_e32 v6, 0xff7fffff
	buffer_store_dword v6, off, s[0:3], 0 offset:48
	s_or_b64 exec, exec, s[4:5]
	v_cmp_u_f32_e32 vcc, v7, v7
	s_and_saveexec_b64 s[4:5], vcc
	s_cbranch_execz .LBB21_16
.LBB21_131:
	v_mov_b32_e32 v6, 0xff7fffff
	buffer_store_dword v6, off, s[0:3], 0 offset:52
	s_or_b64 exec, exec, s[4:5]
	v_cmp_u_f32_e32 vcc, v4, v4
	s_and_saveexec_b64 s[4:5], vcc
	s_cbranch_execz .LBB21_17
.LBB21_132:
	v_mov_b32_e32 v4, 0xff7fffff
	buffer_store_dword v4, off, s[0:3], 0 offset:56
	s_or_b64 exec, exec, s[4:5]
	v_cmp_u_f32_e32 vcc, v5, v5
	s_and_saveexec_b64 s[4:5], vcc
	s_cbranch_execz .LBB21_18
.LBB21_133:
	v_mov_b32_e32 v4, 0xff7fffff
	buffer_store_dword v4, off, s[0:3], 0 offset:60
	s_or_b64 exec, exec, s[4:5]
	v_cmp_u_f32_e32 vcc, v0, v0
	s_and_saveexec_b64 s[4:5], vcc
	s_cbranch_execz .LBB21_19
.LBB21_134:
	v_mov_b32_e32 v0, 0xff7fffff
	buffer_store_dword v0, off, s[0:3], 0 offset:64
	s_or_b64 exec, exec, s[4:5]
	v_cmp_u_f32_e32 vcc, v1, v1
	s_and_saveexec_b64 s[4:5], vcc
	s_cbranch_execnz .LBB21_20
	s_branch .LBB21_21
.LBB21_135:
	v_mul_f32_e32 v16, v20, v3
	buffer_store_dword v16, off, s[0:3], 0 offset:80
	s_or_b64 exec, exec, s[48:49]
	s_and_saveexec_b64 s[40:41], s[38:39]
	s_cbranch_execz .LBB21_60
.LBB21_136:
	v_mul_f32_e32 v16, v18, v3
	buffer_store_dword v16, off, s[0:3], 0 offset:84
	s_or_b64 exec, exec, s[40:41]
	s_and_saveexec_b64 s[38:39], s[36:37]
	s_cbranch_execz .LBB21_61
.LBB21_137:
	v_mul_f32_e32 v16, v19, v3
	buffer_store_dword v16, off, s[0:3], 0 offset:88
	s_or_b64 exec, exec, s[38:39]
	s_and_saveexec_b64 s[36:37], s[34:35]
	s_cbranch_execz .LBB21_62
.LBB21_138:
	v_mul_f32_e32 v16, v17, v3
	buffer_store_dword v16, off, s[0:3], 0 offset:92
	s_or_b64 exec, exec, s[36:37]
	s_and_saveexec_b64 s[34:35], s[30:31]
	s_cbranch_execz .LBB21_63
.LBB21_139:
	v_mul_f32_e32 v15, v15, v3
	buffer_store_dword v15, off, s[0:3], 0 offset:96
	s_or_b64 exec, exec, s[34:35]
	s_and_saveexec_b64 s[30:31], s[28:29]
	s_cbranch_execz .LBB21_64
.LBB21_140:
	v_mul_f32_e32 v14, v14, v3
	buffer_store_dword v14, off, s[0:3], 0 offset:100
	s_or_b64 exec, exec, s[30:31]
	s_and_saveexec_b64 s[28:29], s[26:27]
	s_cbranch_execz .LBB21_65
.LBB21_141:
	v_mul_f32_e32 v12, v12, v3
	buffer_store_dword v12, off, s[0:3], 0 offset:104
	s_or_b64 exec, exec, s[28:29]
	s_and_saveexec_b64 s[26:27], s[24:25]
	s_cbranch_execz .LBB21_66
.LBB21_142:
	v_mul_f32_e32 v8, v8, v3
	buffer_store_dword v8, off, s[0:3], 0 offset:108
	s_or_b64 exec, exec, s[26:27]
	s_and_saveexec_b64 s[24:25], s[22:23]
	s_cbranch_execz .LBB21_67
.LBB21_143:
	v_mul_f32_e32 v8, v11, v3
	buffer_store_dword v8, off, s[0:3], 0 offset:112
	s_or_b64 exec, exec, s[24:25]
	s_and_saveexec_b64 s[22:23], s[20:21]
	s_cbranch_execz .LBB21_68
.LBB21_144:
	v_mul_f32_e32 v8, v10, v3
	buffer_store_dword v8, off, s[0:3], 0 offset:116
	s_or_b64 exec, exec, s[22:23]
	s_and_saveexec_b64 s[20:21], s[18:19]
	s_cbranch_execz .LBB21_69
.LBB21_145:
	v_mul_f32_e32 v8, v9, v3
	buffer_store_dword v8, off, s[0:3], 0 offset:120
	s_or_b64 exec, exec, s[20:21]
	s_and_saveexec_b64 s[18:19], s[16:17]
	s_cbranch_execz .LBB21_70
.LBB21_146:
	v_mul_f32_e32 v7, v7, v3
	buffer_store_dword v7, off, s[0:3], 0 offset:124
	s_or_b64 exec, exec, s[18:19]
	s_and_saveexec_b64 s[16:17], s[14:15]
	s_cbranch_execz .LBB21_71
.LBB21_147:
	v_mul_f32_e32 v6, v6, v3
	buffer_store_dword v6, off, s[0:3], 0 offset:128
	s_or_b64 exec, exec, s[16:17]
	s_and_saveexec_b64 s[14:15], s[12:13]
	s_cbranch_execz .LBB21_72
.LBB21_148:
	v_mul_f32_e32 v5, v5, v3
	buffer_store_dword v5, off, s[0:3], 0 offset:132
	s_or_b64 exec, exec, s[14:15]
	s_and_saveexec_b64 s[12:13], s[10:11]
	s_cbranch_execz .LBB21_73
.LBB21_149:
	v_mul_f32_e32 v4, v4, v3
	buffer_store_dword v4, off, s[0:3], 0 offset:136
	s_or_b64 exec, exec, s[12:13]
	s_and_saveexec_b64 s[10:11], s[8:9]
	s_cbranch_execz .LBB21_74
.LBB21_150:
	v_mul_f32_e32 v1, v1, v3
	buffer_store_dword v1, off, s[0:3], 0 offset:140
	s_or_b64 exec, exec, s[10:11]
	s_and_saveexec_b64 s[8:9], s[6:7]
	s_cbranch_execz .LBB21_75
.LBB21_151:
	v_mul_f32_e32 v1, v2, v3
	buffer_store_dword v1, off, s[0:3], 0 offset:144
	s_or_b64 exec, exec, s[8:9]
	s_and_saveexec_b64 s[6:7], s[4:5]
	s_cbranch_execnz .LBB21_76
	s_branch .LBB21_77
	.section	.rodata,"a",@progbits
	.p2align	6, 0x0
	.amdhsa_kernel _Z13topk_moe_cudaILi576ELb0EEvPKfPfPiS2_iiff15topk_moe_config
		.amdhsa_group_segment_fixed_size 0
		.amdhsa_private_segment_fixed_size 160
		.amdhsa_kernarg_size 312
		.amdhsa_user_sgpr_count 8
		.amdhsa_user_sgpr_private_segment_buffer 1
		.amdhsa_user_sgpr_dispatch_ptr 0
		.amdhsa_user_sgpr_queue_ptr 0
		.amdhsa_user_sgpr_kernarg_segment_ptr 1
		.amdhsa_user_sgpr_dispatch_id 0
		.amdhsa_user_sgpr_flat_scratch_init 1
		.amdhsa_user_sgpr_kernarg_preload_length 0
		.amdhsa_user_sgpr_kernarg_preload_offset 0
		.amdhsa_user_sgpr_private_segment_size 0
		.amdhsa_uses_dynamic_stack 0
		.amdhsa_system_sgpr_private_segment_wavefront_offset 1
		.amdhsa_system_sgpr_workgroup_id_x 1
		.amdhsa_system_sgpr_workgroup_id_y 0
		.amdhsa_system_sgpr_workgroup_id_z 0
		.amdhsa_system_sgpr_workgroup_info 0
		.amdhsa_system_vgpr_workitem_id 1
		.amdhsa_next_free_vgpr 84
		.amdhsa_next_free_sgpr 50
		.amdhsa_accum_offset 84
		.amdhsa_reserve_vcc 1
		.amdhsa_reserve_flat_scratch 0
		.amdhsa_float_round_mode_32 0
		.amdhsa_float_round_mode_16_64 0
		.amdhsa_float_denorm_mode_32 3
		.amdhsa_float_denorm_mode_16_64 3
		.amdhsa_dx10_clamp 1
		.amdhsa_ieee_mode 1
		.amdhsa_fp16_overflow 0
		.amdhsa_tg_split 0
		.amdhsa_exception_fp_ieee_invalid_op 0
		.amdhsa_exception_fp_denorm_src 0
		.amdhsa_exception_fp_ieee_div_zero 0
		.amdhsa_exception_fp_ieee_overflow 0
		.amdhsa_exception_fp_ieee_underflow 0
		.amdhsa_exception_fp_ieee_inexact 0
		.amdhsa_exception_int_div_zero 0
	.end_amdhsa_kernel
	.section	.text._Z13topk_moe_cudaILi576ELb0EEvPKfPfPiS2_iiff15topk_moe_config,"axG",@progbits,_Z13topk_moe_cudaILi576ELb0EEvPKfPfPiS2_iiff15topk_moe_config,comdat
.Lfunc_end21:
	.size	_Z13topk_moe_cudaILi576ELb0EEvPKfPfPiS2_iiff15topk_moe_config, .Lfunc_end21-_Z13topk_moe_cudaILi576ELb0EEvPKfPfPiS2_iiff15topk_moe_config
                                        ; -- End function
	.section	.AMDGPU.csdata,"",@progbits
; Kernel info:
; codeLenInByte = 13428
; NumSgprs: 54
; NumVgprs: 84
; NumAgprs: 0
; TotalNumVgprs: 84
; ScratchSize: 160
; MemoryBound: 0
; FloatMode: 240
; IeeeMode: 1
; LDSByteSize: 0 bytes/workgroup (compile time only)
; SGPRBlocks: 6
; VGPRBlocks: 10
; NumSGPRsForWavesPerEU: 54
; NumVGPRsForWavesPerEU: 84
; AccumOffset: 84
; Occupancy: 5
; WaveLimiterHint : 1
; COMPUTE_PGM_RSRC2:SCRATCH_EN: 1
; COMPUTE_PGM_RSRC2:USER_SGPR: 8
; COMPUTE_PGM_RSRC2:TRAP_HANDLER: 0
; COMPUTE_PGM_RSRC2:TGID_X_EN: 1
; COMPUTE_PGM_RSRC2:TGID_Y_EN: 0
; COMPUTE_PGM_RSRC2:TGID_Z_EN: 0
; COMPUTE_PGM_RSRC2:TIDIG_COMP_CNT: 1
; COMPUTE_PGM_RSRC3_GFX90A:ACCUM_OFFSET: 20
; COMPUTE_PGM_RSRC3_GFX90A:TG_SPLIT: 0
	.text
	.p2alignl 6, 3212836864
	.fill 256, 4, 3212836864
	.type	__hip_cuid_5d88764d0fe64bf6,@object ; @__hip_cuid_5d88764d0fe64bf6
	.section	.bss,"aw",@nobits
	.globl	__hip_cuid_5d88764d0fe64bf6
__hip_cuid_5d88764d0fe64bf6:
	.byte	0                               ; 0x0
	.size	__hip_cuid_5d88764d0fe64bf6, 1

	.ident	"AMD clang version 19.0.0git (https://github.com/RadeonOpenCompute/llvm-project roc-6.4.0 25133 c7fe45cf4b819c5991fe208aaa96edf142730f1d)"
	.section	".note.GNU-stack","",@progbits
	.addrsig
	.addrsig_sym __hip_cuid_5d88764d0fe64bf6
	.amdgpu_metadata
---
amdhsa.kernels:
  - .agpr_count:     0
    .args:
      - .address_space:  global
        .offset:         0
        .size:           8
        .value_kind:     global_buffer
      - .address_space:  global
        .offset:         8
        .size:           8
        .value_kind:     global_buffer
      - .address_space:  global
        .offset:         16
        .size:           8
        .value_kind:     global_buffer
      - .address_space:  global
        .offset:         24
        .size:           8
        .value_kind:     global_buffer
      - .offset:         32
        .size:           4
        .value_kind:     by_value
      - .offset:         36
        .size:           4
        .value_kind:     by_value
      - .offset:         40
        .size:           4
        .value_kind:     by_value
      - .offset:         44
        .size:           4
        .value_kind:     by_value
      - .offset:         48
        .size:           3
        .value_kind:     by_value
      - .offset:         56
        .size:           4
        .value_kind:     hidden_block_count_x
      - .offset:         60
        .size:           4
        .value_kind:     hidden_block_count_y
      - .offset:         64
        .size:           4
        .value_kind:     hidden_block_count_z
      - .offset:         68
        .size:           2
        .value_kind:     hidden_group_size_x
      - .offset:         70
        .size:           2
        .value_kind:     hidden_group_size_y
      - .offset:         72
        .size:           2
        .value_kind:     hidden_group_size_z
      - .offset:         74
        .size:           2
        .value_kind:     hidden_remainder_x
      - .offset:         76
        .size:           2
        .value_kind:     hidden_remainder_y
      - .offset:         78
        .size:           2
        .value_kind:     hidden_remainder_z
      - .offset:         96
        .size:           8
        .value_kind:     hidden_global_offset_x
      - .offset:         104
        .size:           8
        .value_kind:     hidden_global_offset_y
      - .offset:         112
        .size:           8
        .value_kind:     hidden_global_offset_z
      - .offset:         120
        .size:           2
        .value_kind:     hidden_grid_dims
    .group_segment_fixed_size: 0
    .kernarg_segment_align: 8
    .kernarg_segment_size: 312
    .language:       OpenCL C
    .language_version:
      - 2
      - 0
    .max_flat_workgroup_size: 128
    .name:           _Z13topk_moe_cudaILi1ELb1EEvPKfPfPiS2_iiff15topk_moe_config
    .private_segment_fixed_size: 0
    .sgpr_count:     20
    .sgpr_spill_count: 0
    .symbol:         _Z13topk_moe_cudaILi1ELb1EEvPKfPfPiS2_iiff15topk_moe_config.kd
    .uniform_work_group_size: 1
    .uses_dynamic_stack: false
    .vgpr_count:     25
    .vgpr_spill_count: 0
    .wavefront_size: 64
  - .agpr_count:     0
    .args:
      - .address_space:  global
        .offset:         0
        .size:           8
        .value_kind:     global_buffer
      - .address_space:  global
        .offset:         8
        .size:           8
        .value_kind:     global_buffer
      - .address_space:  global
        .offset:         16
        .size:           8
        .value_kind:     global_buffer
      - .address_space:  global
        .offset:         24
        .size:           8
        .value_kind:     global_buffer
      - .offset:         32
        .size:           4
        .value_kind:     by_value
      - .offset:         36
        .size:           4
        .value_kind:     by_value
      - .offset:         40
        .size:           4
        .value_kind:     by_value
      - .offset:         44
        .size:           4
        .value_kind:     by_value
      - .offset:         48
        .size:           3
        .value_kind:     by_value
      - .offset:         56
        .size:           4
        .value_kind:     hidden_block_count_x
      - .offset:         60
        .size:           4
        .value_kind:     hidden_block_count_y
      - .offset:         64
        .size:           4
        .value_kind:     hidden_block_count_z
      - .offset:         68
        .size:           2
        .value_kind:     hidden_group_size_x
      - .offset:         70
        .size:           2
        .value_kind:     hidden_group_size_y
      - .offset:         72
        .size:           2
        .value_kind:     hidden_group_size_z
      - .offset:         74
        .size:           2
        .value_kind:     hidden_remainder_x
      - .offset:         76
        .size:           2
        .value_kind:     hidden_remainder_y
      - .offset:         78
        .size:           2
        .value_kind:     hidden_remainder_z
      - .offset:         96
        .size:           8
        .value_kind:     hidden_global_offset_x
      - .offset:         104
        .size:           8
        .value_kind:     hidden_global_offset_y
      - .offset:         112
        .size:           8
        .value_kind:     hidden_global_offset_z
      - .offset:         120
        .size:           2
        .value_kind:     hidden_grid_dims
    .group_segment_fixed_size: 0
    .kernarg_segment_align: 8
    .kernarg_segment_size: 312
    .language:       OpenCL C
    .language_version:
      - 2
      - 0
    .max_flat_workgroup_size: 128
    .name:           _Z13topk_moe_cudaILi2ELb1EEvPKfPfPiS2_iiff15topk_moe_config
    .private_segment_fixed_size: 0
    .sgpr_count:     20
    .sgpr_spill_count: 0
    .symbol:         _Z13topk_moe_cudaILi2ELb1EEvPKfPfPiS2_iiff15topk_moe_config.kd
    .uniform_work_group_size: 1
    .uses_dynamic_stack: false
    .vgpr_count:     26
    .vgpr_spill_count: 0
    .wavefront_size: 64
  - .agpr_count:     0
    .args:
      - .address_space:  global
        .offset:         0
        .size:           8
        .value_kind:     global_buffer
      - .address_space:  global
        .offset:         8
        .size:           8
        .value_kind:     global_buffer
      - .address_space:  global
        .offset:         16
        .size:           8
        .value_kind:     global_buffer
      - .address_space:  global
        .offset:         24
        .size:           8
        .value_kind:     global_buffer
      - .offset:         32
        .size:           4
        .value_kind:     by_value
      - .offset:         36
        .size:           4
        .value_kind:     by_value
      - .offset:         40
        .size:           4
        .value_kind:     by_value
      - .offset:         44
        .size:           4
        .value_kind:     by_value
      - .offset:         48
        .size:           3
        .value_kind:     by_value
      - .offset:         56
        .size:           4
        .value_kind:     hidden_block_count_x
      - .offset:         60
        .size:           4
        .value_kind:     hidden_block_count_y
      - .offset:         64
        .size:           4
        .value_kind:     hidden_block_count_z
      - .offset:         68
        .size:           2
        .value_kind:     hidden_group_size_x
      - .offset:         70
        .size:           2
        .value_kind:     hidden_group_size_y
      - .offset:         72
        .size:           2
        .value_kind:     hidden_group_size_z
      - .offset:         74
        .size:           2
        .value_kind:     hidden_remainder_x
      - .offset:         76
        .size:           2
        .value_kind:     hidden_remainder_y
      - .offset:         78
        .size:           2
        .value_kind:     hidden_remainder_z
      - .offset:         96
        .size:           8
        .value_kind:     hidden_global_offset_x
      - .offset:         104
        .size:           8
        .value_kind:     hidden_global_offset_y
      - .offset:         112
        .size:           8
        .value_kind:     hidden_global_offset_z
      - .offset:         120
        .size:           2
        .value_kind:     hidden_grid_dims
    .group_segment_fixed_size: 0
    .kernarg_segment_align: 8
    .kernarg_segment_size: 312
    .language:       OpenCL C
    .language_version:
      - 2
      - 0
    .max_flat_workgroup_size: 128
    .name:           _Z13topk_moe_cudaILi4ELb1EEvPKfPfPiS2_iiff15topk_moe_config
    .private_segment_fixed_size: 0
    .sgpr_count:     20
    .sgpr_spill_count: 0
    .symbol:         _Z13topk_moe_cudaILi4ELb1EEvPKfPfPiS2_iiff15topk_moe_config.kd
    .uniform_work_group_size: 1
    .uses_dynamic_stack: false
    .vgpr_count:     26
    .vgpr_spill_count: 0
    .wavefront_size: 64
  - .agpr_count:     0
    .args:
      - .address_space:  global
        .offset:         0
        .size:           8
        .value_kind:     global_buffer
      - .address_space:  global
        .offset:         8
        .size:           8
        .value_kind:     global_buffer
      - .address_space:  global
        .offset:         16
        .size:           8
        .value_kind:     global_buffer
      - .address_space:  global
        .offset:         24
        .size:           8
        .value_kind:     global_buffer
      - .offset:         32
        .size:           4
        .value_kind:     by_value
      - .offset:         36
        .size:           4
        .value_kind:     by_value
      - .offset:         40
        .size:           4
        .value_kind:     by_value
      - .offset:         44
        .size:           4
        .value_kind:     by_value
      - .offset:         48
        .size:           3
        .value_kind:     by_value
      - .offset:         56
        .size:           4
        .value_kind:     hidden_block_count_x
      - .offset:         60
        .size:           4
        .value_kind:     hidden_block_count_y
      - .offset:         64
        .size:           4
        .value_kind:     hidden_block_count_z
      - .offset:         68
        .size:           2
        .value_kind:     hidden_group_size_x
      - .offset:         70
        .size:           2
        .value_kind:     hidden_group_size_y
      - .offset:         72
        .size:           2
        .value_kind:     hidden_group_size_z
      - .offset:         74
        .size:           2
        .value_kind:     hidden_remainder_x
      - .offset:         76
        .size:           2
        .value_kind:     hidden_remainder_y
      - .offset:         78
        .size:           2
        .value_kind:     hidden_remainder_z
      - .offset:         96
        .size:           8
        .value_kind:     hidden_global_offset_x
      - .offset:         104
        .size:           8
        .value_kind:     hidden_global_offset_y
      - .offset:         112
        .size:           8
        .value_kind:     hidden_global_offset_z
      - .offset:         120
        .size:           2
        .value_kind:     hidden_grid_dims
    .group_segment_fixed_size: 0
    .kernarg_segment_align: 8
    .kernarg_segment_size: 312
    .language:       OpenCL C
    .language_version:
      - 2
      - 0
    .max_flat_workgroup_size: 128
    .name:           _Z13topk_moe_cudaILi8ELb1EEvPKfPfPiS2_iiff15topk_moe_config
    .private_segment_fixed_size: 0
    .sgpr_count:     20
    .sgpr_spill_count: 0
    .symbol:         _Z13topk_moe_cudaILi8ELb1EEvPKfPfPiS2_iiff15topk_moe_config.kd
    .uniform_work_group_size: 1
    .uses_dynamic_stack: false
    .vgpr_count:     26
    .vgpr_spill_count: 0
    .wavefront_size: 64
  - .agpr_count:     0
    .args:
      - .address_space:  global
        .offset:         0
        .size:           8
        .value_kind:     global_buffer
      - .address_space:  global
        .offset:         8
        .size:           8
        .value_kind:     global_buffer
      - .address_space:  global
        .offset:         16
        .size:           8
        .value_kind:     global_buffer
      - .address_space:  global
        .offset:         24
        .size:           8
        .value_kind:     global_buffer
      - .offset:         32
        .size:           4
        .value_kind:     by_value
      - .offset:         36
        .size:           4
        .value_kind:     by_value
      - .offset:         40
        .size:           4
        .value_kind:     by_value
      - .offset:         44
        .size:           4
        .value_kind:     by_value
      - .offset:         48
        .size:           3
        .value_kind:     by_value
      - .offset:         56
        .size:           4
        .value_kind:     hidden_block_count_x
      - .offset:         60
        .size:           4
        .value_kind:     hidden_block_count_y
      - .offset:         64
        .size:           4
        .value_kind:     hidden_block_count_z
      - .offset:         68
        .size:           2
        .value_kind:     hidden_group_size_x
      - .offset:         70
        .size:           2
        .value_kind:     hidden_group_size_y
      - .offset:         72
        .size:           2
        .value_kind:     hidden_group_size_z
      - .offset:         74
        .size:           2
        .value_kind:     hidden_remainder_x
      - .offset:         76
        .size:           2
        .value_kind:     hidden_remainder_y
      - .offset:         78
        .size:           2
        .value_kind:     hidden_remainder_z
      - .offset:         96
        .size:           8
        .value_kind:     hidden_global_offset_x
      - .offset:         104
        .size:           8
        .value_kind:     hidden_global_offset_y
      - .offset:         112
        .size:           8
        .value_kind:     hidden_global_offset_z
      - .offset:         120
        .size:           2
        .value_kind:     hidden_grid_dims
    .group_segment_fixed_size: 0
    .kernarg_segment_align: 8
    .kernarg_segment_size: 312
    .language:       OpenCL C
    .language_version:
      - 2
      - 0
    .max_flat_workgroup_size: 128
    .name:           _Z13topk_moe_cudaILi16ELb1EEvPKfPfPiS2_iiff15topk_moe_config
    .private_segment_fixed_size: 0
    .sgpr_count:     20
    .sgpr_spill_count: 0
    .symbol:         _Z13topk_moe_cudaILi16ELb1EEvPKfPfPiS2_iiff15topk_moe_config.kd
    .uniform_work_group_size: 1
    .uses_dynamic_stack: false
    .vgpr_count:     26
    .vgpr_spill_count: 0
    .wavefront_size: 64
  - .agpr_count:     0
    .args:
      - .address_space:  global
        .offset:         0
        .size:           8
        .value_kind:     global_buffer
      - .address_space:  global
        .offset:         8
        .size:           8
        .value_kind:     global_buffer
      - .address_space:  global
        .offset:         16
        .size:           8
        .value_kind:     global_buffer
      - .address_space:  global
        .offset:         24
        .size:           8
        .value_kind:     global_buffer
      - .offset:         32
        .size:           4
        .value_kind:     by_value
      - .offset:         36
        .size:           4
        .value_kind:     by_value
      - .offset:         40
        .size:           4
        .value_kind:     by_value
      - .offset:         44
        .size:           4
        .value_kind:     by_value
      - .offset:         48
        .size:           3
        .value_kind:     by_value
      - .offset:         56
        .size:           4
        .value_kind:     hidden_block_count_x
      - .offset:         60
        .size:           4
        .value_kind:     hidden_block_count_y
      - .offset:         64
        .size:           4
        .value_kind:     hidden_block_count_z
      - .offset:         68
        .size:           2
        .value_kind:     hidden_group_size_x
      - .offset:         70
        .size:           2
        .value_kind:     hidden_group_size_y
      - .offset:         72
        .size:           2
        .value_kind:     hidden_group_size_z
      - .offset:         74
        .size:           2
        .value_kind:     hidden_remainder_x
      - .offset:         76
        .size:           2
        .value_kind:     hidden_remainder_y
      - .offset:         78
        .size:           2
        .value_kind:     hidden_remainder_z
      - .offset:         96
        .size:           8
        .value_kind:     hidden_global_offset_x
      - .offset:         104
        .size:           8
        .value_kind:     hidden_global_offset_y
      - .offset:         112
        .size:           8
        .value_kind:     hidden_global_offset_z
      - .offset:         120
        .size:           2
        .value_kind:     hidden_grid_dims
    .group_segment_fixed_size: 0
    .kernarg_segment_align: 8
    .kernarg_segment_size: 312
    .language:       OpenCL C
    .language_version:
      - 2
      - 0
    .max_flat_workgroup_size: 128
    .name:           _Z13topk_moe_cudaILi32ELb1EEvPKfPfPiS2_iiff15topk_moe_config
    .private_segment_fixed_size: 0
    .sgpr_count:     24
    .sgpr_spill_count: 0
    .symbol:         _Z13topk_moe_cudaILi32ELb1EEvPKfPfPiS2_iiff15topk_moe_config.kd
    .uniform_work_group_size: 1
    .uses_dynamic_stack: false
    .vgpr_count:     26
    .vgpr_spill_count: 0
    .wavefront_size: 64
  - .agpr_count:     0
    .args:
      - .address_space:  global
        .offset:         0
        .size:           8
        .value_kind:     global_buffer
      - .address_space:  global
        .offset:         8
        .size:           8
        .value_kind:     global_buffer
      - .address_space:  global
        .offset:         16
        .size:           8
        .value_kind:     global_buffer
      - .address_space:  global
        .offset:         24
        .size:           8
        .value_kind:     global_buffer
      - .offset:         32
        .size:           4
        .value_kind:     by_value
      - .offset:         36
        .size:           4
        .value_kind:     by_value
      - .offset:         40
        .size:           4
        .value_kind:     by_value
      - .offset:         44
        .size:           4
        .value_kind:     by_value
      - .offset:         48
        .size:           3
        .value_kind:     by_value
      - .offset:         56
        .size:           4
        .value_kind:     hidden_block_count_x
      - .offset:         60
        .size:           4
        .value_kind:     hidden_block_count_y
      - .offset:         64
        .size:           4
        .value_kind:     hidden_block_count_z
      - .offset:         68
        .size:           2
        .value_kind:     hidden_group_size_x
      - .offset:         70
        .size:           2
        .value_kind:     hidden_group_size_y
      - .offset:         72
        .size:           2
        .value_kind:     hidden_group_size_z
      - .offset:         74
        .size:           2
        .value_kind:     hidden_remainder_x
      - .offset:         76
        .size:           2
        .value_kind:     hidden_remainder_y
      - .offset:         78
        .size:           2
        .value_kind:     hidden_remainder_z
      - .offset:         96
        .size:           8
        .value_kind:     hidden_global_offset_x
      - .offset:         104
        .size:           8
        .value_kind:     hidden_global_offset_y
      - .offset:         112
        .size:           8
        .value_kind:     hidden_global_offset_z
      - .offset:         120
        .size:           2
        .value_kind:     hidden_grid_dims
    .group_segment_fixed_size: 0
    .kernarg_segment_align: 8
    .kernarg_segment_size: 312
    .language:       OpenCL C
    .language_version:
      - 2
      - 0
    .max_flat_workgroup_size: 128
    .name:           _Z13topk_moe_cudaILi64ELb1EEvPKfPfPiS2_iiff15topk_moe_config
    .private_segment_fixed_size: 0
    .sgpr_count:     24
    .sgpr_spill_count: 0
    .symbol:         _Z13topk_moe_cudaILi64ELb1EEvPKfPfPiS2_iiff15topk_moe_config.kd
    .uniform_work_group_size: 1
    .uses_dynamic_stack: false
    .vgpr_count:     28
    .vgpr_spill_count: 0
    .wavefront_size: 64
  - .agpr_count:     0
    .args:
      - .address_space:  global
        .offset:         0
        .size:           8
        .value_kind:     global_buffer
      - .address_space:  global
        .offset:         8
        .size:           8
        .value_kind:     global_buffer
      - .address_space:  global
        .offset:         16
        .size:           8
        .value_kind:     global_buffer
      - .address_space:  global
        .offset:         24
        .size:           8
        .value_kind:     global_buffer
      - .offset:         32
        .size:           4
        .value_kind:     by_value
      - .offset:         36
        .size:           4
        .value_kind:     by_value
      - .offset:         40
        .size:           4
        .value_kind:     by_value
      - .offset:         44
        .size:           4
        .value_kind:     by_value
      - .offset:         48
        .size:           3
        .value_kind:     by_value
      - .offset:         56
        .size:           4
        .value_kind:     hidden_block_count_x
      - .offset:         60
        .size:           4
        .value_kind:     hidden_block_count_y
      - .offset:         64
        .size:           4
        .value_kind:     hidden_block_count_z
      - .offset:         68
        .size:           2
        .value_kind:     hidden_group_size_x
      - .offset:         70
        .size:           2
        .value_kind:     hidden_group_size_y
      - .offset:         72
        .size:           2
        .value_kind:     hidden_group_size_z
      - .offset:         74
        .size:           2
        .value_kind:     hidden_remainder_x
      - .offset:         76
        .size:           2
        .value_kind:     hidden_remainder_y
      - .offset:         78
        .size:           2
        .value_kind:     hidden_remainder_z
      - .offset:         96
        .size:           8
        .value_kind:     hidden_global_offset_x
      - .offset:         104
        .size:           8
        .value_kind:     hidden_global_offset_y
      - .offset:         112
        .size:           8
        .value_kind:     hidden_global_offset_z
      - .offset:         120
        .size:           2
        .value_kind:     hidden_grid_dims
    .group_segment_fixed_size: 0
    .kernarg_segment_align: 8
    .kernarg_segment_size: 312
    .language:       OpenCL C
    .language_version:
      - 2
      - 0
    .max_flat_workgroup_size: 128
    .name:           _Z13topk_moe_cudaILi128ELb1EEvPKfPfPiS2_iiff15topk_moe_config
    .private_segment_fixed_size: 0
    .sgpr_count:     24
    .sgpr_spill_count: 0
    .symbol:         _Z13topk_moe_cudaILi128ELb1EEvPKfPfPiS2_iiff15topk_moe_config.kd
    .uniform_work_group_size: 1
    .uses_dynamic_stack: false
    .vgpr_count:     36
    .vgpr_spill_count: 0
    .wavefront_size: 64
  - .agpr_count:     0
    .args:
      - .address_space:  global
        .offset:         0
        .size:           8
        .value_kind:     global_buffer
      - .address_space:  global
        .offset:         8
        .size:           8
        .value_kind:     global_buffer
      - .address_space:  global
        .offset:         16
        .size:           8
        .value_kind:     global_buffer
      - .address_space:  global
        .offset:         24
        .size:           8
        .value_kind:     global_buffer
      - .offset:         32
        .size:           4
        .value_kind:     by_value
      - .offset:         36
        .size:           4
        .value_kind:     by_value
      - .offset:         40
        .size:           4
        .value_kind:     by_value
      - .offset:         44
        .size:           4
        .value_kind:     by_value
      - .offset:         48
        .size:           3
        .value_kind:     by_value
      - .offset:         56
        .size:           4
        .value_kind:     hidden_block_count_x
      - .offset:         60
        .size:           4
        .value_kind:     hidden_block_count_y
      - .offset:         64
        .size:           4
        .value_kind:     hidden_block_count_z
      - .offset:         68
        .size:           2
        .value_kind:     hidden_group_size_x
      - .offset:         70
        .size:           2
        .value_kind:     hidden_group_size_y
      - .offset:         72
        .size:           2
        .value_kind:     hidden_group_size_z
      - .offset:         74
        .size:           2
        .value_kind:     hidden_remainder_x
      - .offset:         76
        .size:           2
        .value_kind:     hidden_remainder_y
      - .offset:         78
        .size:           2
        .value_kind:     hidden_remainder_z
      - .offset:         96
        .size:           8
        .value_kind:     hidden_global_offset_x
      - .offset:         104
        .size:           8
        .value_kind:     hidden_global_offset_y
      - .offset:         112
        .size:           8
        .value_kind:     hidden_global_offset_z
      - .offset:         120
        .size:           2
        .value_kind:     hidden_grid_dims
    .group_segment_fixed_size: 0
    .kernarg_segment_align: 8
    .kernarg_segment_size: 312
    .language:       OpenCL C
    .language_version:
      - 2
      - 0
    .max_flat_workgroup_size: 128
    .name:           _Z13topk_moe_cudaILi256ELb1EEvPKfPfPiS2_iiff15topk_moe_config
    .private_segment_fixed_size: 0
    .sgpr_count:     32
    .sgpr_spill_count: 0
    .symbol:         _Z13topk_moe_cudaILi256ELb1EEvPKfPfPiS2_iiff15topk_moe_config.kd
    .uniform_work_group_size: 1
    .uses_dynamic_stack: false
    .vgpr_count:     52
    .vgpr_spill_count: 0
    .wavefront_size: 64
  - .agpr_count:     0
    .args:
      - .address_space:  global
        .offset:         0
        .size:           8
        .value_kind:     global_buffer
      - .address_space:  global
        .offset:         8
        .size:           8
        .value_kind:     global_buffer
      - .address_space:  global
        .offset:         16
        .size:           8
        .value_kind:     global_buffer
      - .address_space:  global
        .offset:         24
        .size:           8
        .value_kind:     global_buffer
      - .offset:         32
        .size:           4
        .value_kind:     by_value
      - .offset:         36
        .size:           4
        .value_kind:     by_value
      - .offset:         40
        .size:           4
        .value_kind:     by_value
      - .offset:         44
        .size:           4
        .value_kind:     by_value
      - .offset:         48
        .size:           3
        .value_kind:     by_value
      - .offset:         56
        .size:           4
        .value_kind:     hidden_block_count_x
      - .offset:         60
        .size:           4
        .value_kind:     hidden_block_count_y
      - .offset:         64
        .size:           4
        .value_kind:     hidden_block_count_z
      - .offset:         68
        .size:           2
        .value_kind:     hidden_group_size_x
      - .offset:         70
        .size:           2
        .value_kind:     hidden_group_size_y
      - .offset:         72
        .size:           2
        .value_kind:     hidden_group_size_z
      - .offset:         74
        .size:           2
        .value_kind:     hidden_remainder_x
      - .offset:         76
        .size:           2
        .value_kind:     hidden_remainder_y
      - .offset:         78
        .size:           2
        .value_kind:     hidden_remainder_z
      - .offset:         96
        .size:           8
        .value_kind:     hidden_global_offset_x
      - .offset:         104
        .size:           8
        .value_kind:     hidden_global_offset_y
      - .offset:         112
        .size:           8
        .value_kind:     hidden_global_offset_z
      - .offset:         120
        .size:           2
        .value_kind:     hidden_grid_dims
    .group_segment_fixed_size: 0
    .kernarg_segment_align: 8
    .kernarg_segment_size: 312
    .language:       OpenCL C
    .language_version:
      - 2
      - 0
    .max_flat_workgroup_size: 128
    .name:           _Z13topk_moe_cudaILi512ELb1EEvPKfPfPiS2_iiff15topk_moe_config
    .private_segment_fixed_size: 0
    .sgpr_count:     52
    .sgpr_spill_count: 0
    .symbol:         _Z13topk_moe_cudaILi512ELb1EEvPKfPfPiS2_iiff15topk_moe_config.kd
    .uniform_work_group_size: 1
    .uses_dynamic_stack: false
    .vgpr_count:     93
    .vgpr_spill_count: 0
    .wavefront_size: 64
  - .agpr_count:     0
    .args:
      - .address_space:  global
        .offset:         0
        .size:           8
        .value_kind:     global_buffer
      - .address_space:  global
        .offset:         8
        .size:           8
        .value_kind:     global_buffer
      - .address_space:  global
        .offset:         16
        .size:           8
        .value_kind:     global_buffer
      - .address_space:  global
        .offset:         24
        .size:           8
        .value_kind:     global_buffer
      - .offset:         32
        .size:           4
        .value_kind:     by_value
      - .offset:         36
        .size:           4
        .value_kind:     by_value
      - .offset:         40
        .size:           4
        .value_kind:     by_value
      - .offset:         44
        .size:           4
        .value_kind:     by_value
      - .offset:         48
        .size:           3
        .value_kind:     by_value
      - .offset:         56
        .size:           4
        .value_kind:     hidden_block_count_x
      - .offset:         60
        .size:           4
        .value_kind:     hidden_block_count_y
      - .offset:         64
        .size:           4
        .value_kind:     hidden_block_count_z
      - .offset:         68
        .size:           2
        .value_kind:     hidden_group_size_x
      - .offset:         70
        .size:           2
        .value_kind:     hidden_group_size_y
      - .offset:         72
        .size:           2
        .value_kind:     hidden_group_size_z
      - .offset:         74
        .size:           2
        .value_kind:     hidden_remainder_x
      - .offset:         76
        .size:           2
        .value_kind:     hidden_remainder_y
      - .offset:         78
        .size:           2
        .value_kind:     hidden_remainder_z
      - .offset:         96
        .size:           8
        .value_kind:     hidden_global_offset_x
      - .offset:         104
        .size:           8
        .value_kind:     hidden_global_offset_y
      - .offset:         112
        .size:           8
        .value_kind:     hidden_global_offset_z
      - .offset:         120
        .size:           2
        .value_kind:     hidden_grid_dims
    .group_segment_fixed_size: 0
    .kernarg_segment_align: 8
    .kernarg_segment_size: 312
    .language:       OpenCL C
    .language_version:
      - 2
      - 0
    .max_flat_workgroup_size: 128
    .name:           _Z13topk_moe_cudaILi576ELb1EEvPKfPfPiS2_iiff15topk_moe_config
    .private_segment_fixed_size: 160
    .sgpr_count:     56
    .sgpr_spill_count: 0
    .symbol:         _Z13topk_moe_cudaILi576ELb1EEvPKfPfPiS2_iiff15topk_moe_config.kd
    .uniform_work_group_size: 1
    .uses_dynamic_stack: false
    .vgpr_count:     86
    .vgpr_spill_count: 0
    .wavefront_size: 64
  - .agpr_count:     0
    .args:
      - .address_space:  global
        .offset:         0
        .size:           8
        .value_kind:     global_buffer
      - .address_space:  global
        .offset:         8
        .size:           8
        .value_kind:     global_buffer
      - .address_space:  global
        .offset:         16
        .size:           8
        .value_kind:     global_buffer
      - .address_space:  global
        .offset:         24
        .size:           8
        .value_kind:     global_buffer
      - .offset:         32
        .size:           4
        .value_kind:     by_value
      - .offset:         36
        .size:           4
        .value_kind:     by_value
      - .offset:         40
        .size:           4
        .value_kind:     by_value
      - .offset:         44
        .size:           4
        .value_kind:     by_value
      - .offset:         48
        .size:           3
        .value_kind:     by_value
      - .offset:         56
        .size:           4
        .value_kind:     hidden_block_count_x
      - .offset:         60
        .size:           4
        .value_kind:     hidden_block_count_y
      - .offset:         64
        .size:           4
        .value_kind:     hidden_block_count_z
      - .offset:         68
        .size:           2
        .value_kind:     hidden_group_size_x
      - .offset:         70
        .size:           2
        .value_kind:     hidden_group_size_y
      - .offset:         72
        .size:           2
        .value_kind:     hidden_group_size_z
      - .offset:         74
        .size:           2
        .value_kind:     hidden_remainder_x
      - .offset:         76
        .size:           2
        .value_kind:     hidden_remainder_y
      - .offset:         78
        .size:           2
        .value_kind:     hidden_remainder_z
      - .offset:         96
        .size:           8
        .value_kind:     hidden_global_offset_x
      - .offset:         104
        .size:           8
        .value_kind:     hidden_global_offset_y
      - .offset:         112
        .size:           8
        .value_kind:     hidden_global_offset_z
      - .offset:         120
        .size:           2
        .value_kind:     hidden_grid_dims
    .group_segment_fixed_size: 0
    .kernarg_segment_align: 8
    .kernarg_segment_size: 312
    .language:       OpenCL C
    .language_version:
      - 2
      - 0
    .max_flat_workgroup_size: 128
    .name:           _Z13topk_moe_cudaILi1ELb0EEvPKfPfPiS2_iiff15topk_moe_config
    .private_segment_fixed_size: 0
    .sgpr_count:     20
    .sgpr_spill_count: 0
    .symbol:         _Z13topk_moe_cudaILi1ELb0EEvPKfPfPiS2_iiff15topk_moe_config.kd
    .uniform_work_group_size: 1
    .uses_dynamic_stack: false
    .vgpr_count:     19
    .vgpr_spill_count: 0
    .wavefront_size: 64
  - .agpr_count:     0
    .args:
      - .address_space:  global
        .offset:         0
        .size:           8
        .value_kind:     global_buffer
      - .address_space:  global
        .offset:         8
        .size:           8
        .value_kind:     global_buffer
      - .address_space:  global
        .offset:         16
        .size:           8
        .value_kind:     global_buffer
      - .address_space:  global
        .offset:         24
        .size:           8
        .value_kind:     global_buffer
      - .offset:         32
        .size:           4
        .value_kind:     by_value
      - .offset:         36
        .size:           4
        .value_kind:     by_value
      - .offset:         40
        .size:           4
        .value_kind:     by_value
      - .offset:         44
        .size:           4
        .value_kind:     by_value
      - .offset:         48
        .size:           3
        .value_kind:     by_value
      - .offset:         56
        .size:           4
        .value_kind:     hidden_block_count_x
      - .offset:         60
        .size:           4
        .value_kind:     hidden_block_count_y
      - .offset:         64
        .size:           4
        .value_kind:     hidden_block_count_z
      - .offset:         68
        .size:           2
        .value_kind:     hidden_group_size_x
      - .offset:         70
        .size:           2
        .value_kind:     hidden_group_size_y
      - .offset:         72
        .size:           2
        .value_kind:     hidden_group_size_z
      - .offset:         74
        .size:           2
        .value_kind:     hidden_remainder_x
      - .offset:         76
        .size:           2
        .value_kind:     hidden_remainder_y
      - .offset:         78
        .size:           2
        .value_kind:     hidden_remainder_z
      - .offset:         96
        .size:           8
        .value_kind:     hidden_global_offset_x
      - .offset:         104
        .size:           8
        .value_kind:     hidden_global_offset_y
      - .offset:         112
        .size:           8
        .value_kind:     hidden_global_offset_z
      - .offset:         120
        .size:           2
        .value_kind:     hidden_grid_dims
    .group_segment_fixed_size: 0
    .kernarg_segment_align: 8
    .kernarg_segment_size: 312
    .language:       OpenCL C
    .language_version:
      - 2
      - 0
    .max_flat_workgroup_size: 128
    .name:           _Z13topk_moe_cudaILi2ELb0EEvPKfPfPiS2_iiff15topk_moe_config
    .private_segment_fixed_size: 0
    .sgpr_count:     20
    .sgpr_spill_count: 0
    .symbol:         _Z13topk_moe_cudaILi2ELb0EEvPKfPfPiS2_iiff15topk_moe_config.kd
    .uniform_work_group_size: 1
    .uses_dynamic_stack: false
    .vgpr_count:     20
    .vgpr_spill_count: 0
    .wavefront_size: 64
  - .agpr_count:     0
    .args:
      - .address_space:  global
        .offset:         0
        .size:           8
        .value_kind:     global_buffer
      - .address_space:  global
        .offset:         8
        .size:           8
        .value_kind:     global_buffer
      - .address_space:  global
        .offset:         16
        .size:           8
        .value_kind:     global_buffer
      - .address_space:  global
        .offset:         24
        .size:           8
        .value_kind:     global_buffer
      - .offset:         32
        .size:           4
        .value_kind:     by_value
      - .offset:         36
        .size:           4
        .value_kind:     by_value
      - .offset:         40
        .size:           4
        .value_kind:     by_value
      - .offset:         44
        .size:           4
        .value_kind:     by_value
      - .offset:         48
        .size:           3
        .value_kind:     by_value
      - .offset:         56
        .size:           4
        .value_kind:     hidden_block_count_x
      - .offset:         60
        .size:           4
        .value_kind:     hidden_block_count_y
      - .offset:         64
        .size:           4
        .value_kind:     hidden_block_count_z
      - .offset:         68
        .size:           2
        .value_kind:     hidden_group_size_x
      - .offset:         70
        .size:           2
        .value_kind:     hidden_group_size_y
      - .offset:         72
        .size:           2
        .value_kind:     hidden_group_size_z
      - .offset:         74
        .size:           2
        .value_kind:     hidden_remainder_x
      - .offset:         76
        .size:           2
        .value_kind:     hidden_remainder_y
      - .offset:         78
        .size:           2
        .value_kind:     hidden_remainder_z
      - .offset:         96
        .size:           8
        .value_kind:     hidden_global_offset_x
      - .offset:         104
        .size:           8
        .value_kind:     hidden_global_offset_y
      - .offset:         112
        .size:           8
        .value_kind:     hidden_global_offset_z
      - .offset:         120
        .size:           2
        .value_kind:     hidden_grid_dims
    .group_segment_fixed_size: 0
    .kernarg_segment_align: 8
    .kernarg_segment_size: 312
    .language:       OpenCL C
    .language_version:
      - 2
      - 0
    .max_flat_workgroup_size: 128
    .name:           _Z13topk_moe_cudaILi4ELb0EEvPKfPfPiS2_iiff15topk_moe_config
    .private_segment_fixed_size: 0
    .sgpr_count:     20
    .sgpr_spill_count: 0
    .symbol:         _Z13topk_moe_cudaILi4ELb0EEvPKfPfPiS2_iiff15topk_moe_config.kd
    .uniform_work_group_size: 1
    .uses_dynamic_stack: false
    .vgpr_count:     20
    .vgpr_spill_count: 0
    .wavefront_size: 64
  - .agpr_count:     0
    .args:
      - .address_space:  global
        .offset:         0
        .size:           8
        .value_kind:     global_buffer
      - .address_space:  global
        .offset:         8
        .size:           8
        .value_kind:     global_buffer
      - .address_space:  global
        .offset:         16
        .size:           8
        .value_kind:     global_buffer
      - .address_space:  global
        .offset:         24
        .size:           8
        .value_kind:     global_buffer
      - .offset:         32
        .size:           4
        .value_kind:     by_value
      - .offset:         36
        .size:           4
        .value_kind:     by_value
      - .offset:         40
        .size:           4
        .value_kind:     by_value
      - .offset:         44
        .size:           4
        .value_kind:     by_value
      - .offset:         48
        .size:           3
        .value_kind:     by_value
      - .offset:         56
        .size:           4
        .value_kind:     hidden_block_count_x
      - .offset:         60
        .size:           4
        .value_kind:     hidden_block_count_y
      - .offset:         64
        .size:           4
        .value_kind:     hidden_block_count_z
      - .offset:         68
        .size:           2
        .value_kind:     hidden_group_size_x
      - .offset:         70
        .size:           2
        .value_kind:     hidden_group_size_y
      - .offset:         72
        .size:           2
        .value_kind:     hidden_group_size_z
      - .offset:         74
        .size:           2
        .value_kind:     hidden_remainder_x
      - .offset:         76
        .size:           2
        .value_kind:     hidden_remainder_y
      - .offset:         78
        .size:           2
        .value_kind:     hidden_remainder_z
      - .offset:         96
        .size:           8
        .value_kind:     hidden_global_offset_x
      - .offset:         104
        .size:           8
        .value_kind:     hidden_global_offset_y
      - .offset:         112
        .size:           8
        .value_kind:     hidden_global_offset_z
      - .offset:         120
        .size:           2
        .value_kind:     hidden_grid_dims
    .group_segment_fixed_size: 0
    .kernarg_segment_align: 8
    .kernarg_segment_size: 312
    .language:       OpenCL C
    .language_version:
      - 2
      - 0
    .max_flat_workgroup_size: 128
    .name:           _Z13topk_moe_cudaILi8ELb0EEvPKfPfPiS2_iiff15topk_moe_config
    .private_segment_fixed_size: 0
    .sgpr_count:     20
    .sgpr_spill_count: 0
    .symbol:         _Z13topk_moe_cudaILi8ELb0EEvPKfPfPiS2_iiff15topk_moe_config.kd
    .uniform_work_group_size: 1
    .uses_dynamic_stack: false
    .vgpr_count:     20
    .vgpr_spill_count: 0
    .wavefront_size: 64
  - .agpr_count:     0
    .args:
      - .address_space:  global
        .offset:         0
        .size:           8
        .value_kind:     global_buffer
      - .address_space:  global
        .offset:         8
        .size:           8
        .value_kind:     global_buffer
      - .address_space:  global
        .offset:         16
        .size:           8
        .value_kind:     global_buffer
      - .address_space:  global
        .offset:         24
        .size:           8
        .value_kind:     global_buffer
      - .offset:         32
        .size:           4
        .value_kind:     by_value
      - .offset:         36
        .size:           4
        .value_kind:     by_value
      - .offset:         40
        .size:           4
        .value_kind:     by_value
      - .offset:         44
        .size:           4
        .value_kind:     by_value
      - .offset:         48
        .size:           3
        .value_kind:     by_value
      - .offset:         56
        .size:           4
        .value_kind:     hidden_block_count_x
      - .offset:         60
        .size:           4
        .value_kind:     hidden_block_count_y
      - .offset:         64
        .size:           4
        .value_kind:     hidden_block_count_z
      - .offset:         68
        .size:           2
        .value_kind:     hidden_group_size_x
      - .offset:         70
        .size:           2
        .value_kind:     hidden_group_size_y
      - .offset:         72
        .size:           2
        .value_kind:     hidden_group_size_z
      - .offset:         74
        .size:           2
        .value_kind:     hidden_remainder_x
      - .offset:         76
        .size:           2
        .value_kind:     hidden_remainder_y
      - .offset:         78
        .size:           2
        .value_kind:     hidden_remainder_z
      - .offset:         96
        .size:           8
        .value_kind:     hidden_global_offset_x
      - .offset:         104
        .size:           8
        .value_kind:     hidden_global_offset_y
      - .offset:         112
        .size:           8
        .value_kind:     hidden_global_offset_z
      - .offset:         120
        .size:           2
        .value_kind:     hidden_grid_dims
    .group_segment_fixed_size: 0
    .kernarg_segment_align: 8
    .kernarg_segment_size: 312
    .language:       OpenCL C
    .language_version:
      - 2
      - 0
    .max_flat_workgroup_size: 128
    .name:           _Z13topk_moe_cudaILi16ELb0EEvPKfPfPiS2_iiff15topk_moe_config
    .private_segment_fixed_size: 0
    .sgpr_count:     20
    .sgpr_spill_count: 0
    .symbol:         _Z13topk_moe_cudaILi16ELb0EEvPKfPfPiS2_iiff15topk_moe_config.kd
    .uniform_work_group_size: 1
    .uses_dynamic_stack: false
    .vgpr_count:     20
    .vgpr_spill_count: 0
    .wavefront_size: 64
  - .agpr_count:     0
    .args:
      - .address_space:  global
        .offset:         0
        .size:           8
        .value_kind:     global_buffer
      - .address_space:  global
        .offset:         8
        .size:           8
        .value_kind:     global_buffer
      - .address_space:  global
        .offset:         16
        .size:           8
        .value_kind:     global_buffer
      - .address_space:  global
        .offset:         24
        .size:           8
        .value_kind:     global_buffer
      - .offset:         32
        .size:           4
        .value_kind:     by_value
      - .offset:         36
        .size:           4
        .value_kind:     by_value
      - .offset:         40
        .size:           4
        .value_kind:     by_value
      - .offset:         44
        .size:           4
        .value_kind:     by_value
      - .offset:         48
        .size:           3
        .value_kind:     by_value
      - .offset:         56
        .size:           4
        .value_kind:     hidden_block_count_x
      - .offset:         60
        .size:           4
        .value_kind:     hidden_block_count_y
      - .offset:         64
        .size:           4
        .value_kind:     hidden_block_count_z
      - .offset:         68
        .size:           2
        .value_kind:     hidden_group_size_x
      - .offset:         70
        .size:           2
        .value_kind:     hidden_group_size_y
      - .offset:         72
        .size:           2
        .value_kind:     hidden_group_size_z
      - .offset:         74
        .size:           2
        .value_kind:     hidden_remainder_x
      - .offset:         76
        .size:           2
        .value_kind:     hidden_remainder_y
      - .offset:         78
        .size:           2
        .value_kind:     hidden_remainder_z
      - .offset:         96
        .size:           8
        .value_kind:     hidden_global_offset_x
      - .offset:         104
        .size:           8
        .value_kind:     hidden_global_offset_y
      - .offset:         112
        .size:           8
        .value_kind:     hidden_global_offset_z
      - .offset:         120
        .size:           2
        .value_kind:     hidden_grid_dims
    .group_segment_fixed_size: 0
    .kernarg_segment_align: 8
    .kernarg_segment_size: 312
    .language:       OpenCL C
    .language_version:
      - 2
      - 0
    .max_flat_workgroup_size: 128
    .name:           _Z13topk_moe_cudaILi32ELb0EEvPKfPfPiS2_iiff15topk_moe_config
    .private_segment_fixed_size: 0
    .sgpr_count:     20
    .sgpr_spill_count: 0
    .symbol:         _Z13topk_moe_cudaILi32ELb0EEvPKfPfPiS2_iiff15topk_moe_config.kd
    .uniform_work_group_size: 1
    .uses_dynamic_stack: false
    .vgpr_count:     20
    .vgpr_spill_count: 0
    .wavefront_size: 64
  - .agpr_count:     0
    .args:
      - .address_space:  global
        .offset:         0
        .size:           8
        .value_kind:     global_buffer
      - .address_space:  global
        .offset:         8
        .size:           8
        .value_kind:     global_buffer
      - .address_space:  global
        .offset:         16
        .size:           8
        .value_kind:     global_buffer
      - .address_space:  global
        .offset:         24
        .size:           8
        .value_kind:     global_buffer
      - .offset:         32
        .size:           4
        .value_kind:     by_value
      - .offset:         36
        .size:           4
        .value_kind:     by_value
      - .offset:         40
        .size:           4
        .value_kind:     by_value
      - .offset:         44
        .size:           4
        .value_kind:     by_value
      - .offset:         48
        .size:           3
        .value_kind:     by_value
      - .offset:         56
        .size:           4
        .value_kind:     hidden_block_count_x
      - .offset:         60
        .size:           4
        .value_kind:     hidden_block_count_y
      - .offset:         64
        .size:           4
        .value_kind:     hidden_block_count_z
      - .offset:         68
        .size:           2
        .value_kind:     hidden_group_size_x
      - .offset:         70
        .size:           2
        .value_kind:     hidden_group_size_y
      - .offset:         72
        .size:           2
        .value_kind:     hidden_group_size_z
      - .offset:         74
        .size:           2
        .value_kind:     hidden_remainder_x
      - .offset:         76
        .size:           2
        .value_kind:     hidden_remainder_y
      - .offset:         78
        .size:           2
        .value_kind:     hidden_remainder_z
      - .offset:         96
        .size:           8
        .value_kind:     hidden_global_offset_x
      - .offset:         104
        .size:           8
        .value_kind:     hidden_global_offset_y
      - .offset:         112
        .size:           8
        .value_kind:     hidden_global_offset_z
      - .offset:         120
        .size:           2
        .value_kind:     hidden_grid_dims
    .group_segment_fixed_size: 0
    .kernarg_segment_align: 8
    .kernarg_segment_size: 312
    .language:       OpenCL C
    .language_version:
      - 2
      - 0
    .max_flat_workgroup_size: 128
    .name:           _Z13topk_moe_cudaILi64ELb0EEvPKfPfPiS2_iiff15topk_moe_config
    .private_segment_fixed_size: 0
    .sgpr_count:     21
    .sgpr_spill_count: 0
    .symbol:         _Z13topk_moe_cudaILi64ELb0EEvPKfPfPiS2_iiff15topk_moe_config.kd
    .uniform_work_group_size: 1
    .uses_dynamic_stack: false
    .vgpr_count:     22
    .vgpr_spill_count: 0
    .wavefront_size: 64
  - .agpr_count:     0
    .args:
      - .address_space:  global
        .offset:         0
        .size:           8
        .value_kind:     global_buffer
      - .address_space:  global
        .offset:         8
        .size:           8
        .value_kind:     global_buffer
      - .address_space:  global
        .offset:         16
        .size:           8
        .value_kind:     global_buffer
      - .address_space:  global
        .offset:         24
        .size:           8
        .value_kind:     global_buffer
      - .offset:         32
        .size:           4
        .value_kind:     by_value
      - .offset:         36
        .size:           4
        .value_kind:     by_value
      - .offset:         40
        .size:           4
        .value_kind:     by_value
      - .offset:         44
        .size:           4
        .value_kind:     by_value
      - .offset:         48
        .size:           3
        .value_kind:     by_value
      - .offset:         56
        .size:           4
        .value_kind:     hidden_block_count_x
      - .offset:         60
        .size:           4
        .value_kind:     hidden_block_count_y
      - .offset:         64
        .size:           4
        .value_kind:     hidden_block_count_z
      - .offset:         68
        .size:           2
        .value_kind:     hidden_group_size_x
      - .offset:         70
        .size:           2
        .value_kind:     hidden_group_size_y
      - .offset:         72
        .size:           2
        .value_kind:     hidden_group_size_z
      - .offset:         74
        .size:           2
        .value_kind:     hidden_remainder_x
      - .offset:         76
        .size:           2
        .value_kind:     hidden_remainder_y
      - .offset:         78
        .size:           2
        .value_kind:     hidden_remainder_z
      - .offset:         96
        .size:           8
        .value_kind:     hidden_global_offset_x
      - .offset:         104
        .size:           8
        .value_kind:     hidden_global_offset_y
      - .offset:         112
        .size:           8
        .value_kind:     hidden_global_offset_z
      - .offset:         120
        .size:           2
        .value_kind:     hidden_grid_dims
    .group_segment_fixed_size: 0
    .kernarg_segment_align: 8
    .kernarg_segment_size: 312
    .language:       OpenCL C
    .language_version:
      - 2
      - 0
    .max_flat_workgroup_size: 128
    .name:           _Z13topk_moe_cudaILi128ELb0EEvPKfPfPiS2_iiff15topk_moe_config
    .private_segment_fixed_size: 0
    .sgpr_count:     23
    .sgpr_spill_count: 0
    .symbol:         _Z13topk_moe_cudaILi128ELb0EEvPKfPfPiS2_iiff15topk_moe_config.kd
    .uniform_work_group_size: 1
    .uses_dynamic_stack: false
    .vgpr_count:     28
    .vgpr_spill_count: 0
    .wavefront_size: 64
  - .agpr_count:     0
    .args:
      - .address_space:  global
        .offset:         0
        .size:           8
        .value_kind:     global_buffer
      - .address_space:  global
        .offset:         8
        .size:           8
        .value_kind:     global_buffer
      - .address_space:  global
        .offset:         16
        .size:           8
        .value_kind:     global_buffer
      - .address_space:  global
        .offset:         24
        .size:           8
        .value_kind:     global_buffer
      - .offset:         32
        .size:           4
        .value_kind:     by_value
      - .offset:         36
        .size:           4
        .value_kind:     by_value
      - .offset:         40
        .size:           4
        .value_kind:     by_value
      - .offset:         44
        .size:           4
        .value_kind:     by_value
      - .offset:         48
        .size:           3
        .value_kind:     by_value
      - .offset:         56
        .size:           4
        .value_kind:     hidden_block_count_x
      - .offset:         60
        .size:           4
        .value_kind:     hidden_block_count_y
      - .offset:         64
        .size:           4
        .value_kind:     hidden_block_count_z
      - .offset:         68
        .size:           2
        .value_kind:     hidden_group_size_x
      - .offset:         70
        .size:           2
        .value_kind:     hidden_group_size_y
      - .offset:         72
        .size:           2
        .value_kind:     hidden_group_size_z
      - .offset:         74
        .size:           2
        .value_kind:     hidden_remainder_x
      - .offset:         76
        .size:           2
        .value_kind:     hidden_remainder_y
      - .offset:         78
        .size:           2
        .value_kind:     hidden_remainder_z
      - .offset:         96
        .size:           8
        .value_kind:     hidden_global_offset_x
      - .offset:         104
        .size:           8
        .value_kind:     hidden_global_offset_y
      - .offset:         112
        .size:           8
        .value_kind:     hidden_global_offset_z
      - .offset:         120
        .size:           2
        .value_kind:     hidden_grid_dims
    .group_segment_fixed_size: 0
    .kernarg_segment_align: 8
    .kernarg_segment_size: 312
    .language:       OpenCL C
    .language_version:
      - 2
      - 0
    .max_flat_workgroup_size: 128
    .name:           _Z13topk_moe_cudaILi256ELb0EEvPKfPfPiS2_iiff15topk_moe_config
    .private_segment_fixed_size: 0
    .sgpr_count:     32
    .sgpr_spill_count: 0
    .symbol:         _Z13topk_moe_cudaILi256ELb0EEvPKfPfPiS2_iiff15topk_moe_config.kd
    .uniform_work_group_size: 1
    .uses_dynamic_stack: false
    .vgpr_count:     40
    .vgpr_spill_count: 0
    .wavefront_size: 64
  - .agpr_count:     0
    .args:
      - .address_space:  global
        .offset:         0
        .size:           8
        .value_kind:     global_buffer
      - .address_space:  global
        .offset:         8
        .size:           8
        .value_kind:     global_buffer
      - .address_space:  global
        .offset:         16
        .size:           8
        .value_kind:     global_buffer
      - .address_space:  global
        .offset:         24
        .size:           8
        .value_kind:     global_buffer
      - .offset:         32
        .size:           4
        .value_kind:     by_value
      - .offset:         36
        .size:           4
        .value_kind:     by_value
      - .offset:         40
        .size:           4
        .value_kind:     by_value
      - .offset:         44
        .size:           4
        .value_kind:     by_value
      - .offset:         48
        .size:           3
        .value_kind:     by_value
      - .offset:         56
        .size:           4
        .value_kind:     hidden_block_count_x
      - .offset:         60
        .size:           4
        .value_kind:     hidden_block_count_y
      - .offset:         64
        .size:           4
        .value_kind:     hidden_block_count_z
      - .offset:         68
        .size:           2
        .value_kind:     hidden_group_size_x
      - .offset:         70
        .size:           2
        .value_kind:     hidden_group_size_y
      - .offset:         72
        .size:           2
        .value_kind:     hidden_group_size_z
      - .offset:         74
        .size:           2
        .value_kind:     hidden_remainder_x
      - .offset:         76
        .size:           2
        .value_kind:     hidden_remainder_y
      - .offset:         78
        .size:           2
        .value_kind:     hidden_remainder_z
      - .offset:         96
        .size:           8
        .value_kind:     hidden_global_offset_x
      - .offset:         104
        .size:           8
        .value_kind:     hidden_global_offset_y
      - .offset:         112
        .size:           8
        .value_kind:     hidden_global_offset_z
      - .offset:         120
        .size:           2
        .value_kind:     hidden_grid_dims
    .group_segment_fixed_size: 0
    .kernarg_segment_align: 8
    .kernarg_segment_size: 312
    .language:       OpenCL C
    .language_version:
      - 2
      - 0
    .max_flat_workgroup_size: 128
    .name:           _Z13topk_moe_cudaILi512ELb0EEvPKfPfPiS2_iiff15topk_moe_config
    .private_segment_fixed_size: 0
    .sgpr_count:     50
    .sgpr_spill_count: 0
    .symbol:         _Z13topk_moe_cudaILi512ELb0EEvPKfPfPiS2_iiff15topk_moe_config.kd
    .uniform_work_group_size: 1
    .uses_dynamic_stack: false
    .vgpr_count:     77
    .vgpr_spill_count: 0
    .wavefront_size: 64
  - .agpr_count:     0
    .args:
      - .address_space:  global
        .offset:         0
        .size:           8
        .value_kind:     global_buffer
      - .address_space:  global
        .offset:         8
        .size:           8
        .value_kind:     global_buffer
      - .address_space:  global
        .offset:         16
        .size:           8
        .value_kind:     global_buffer
      - .address_space:  global
        .offset:         24
        .size:           8
        .value_kind:     global_buffer
      - .offset:         32
        .size:           4
        .value_kind:     by_value
      - .offset:         36
        .size:           4
        .value_kind:     by_value
      - .offset:         40
        .size:           4
        .value_kind:     by_value
      - .offset:         44
        .size:           4
        .value_kind:     by_value
      - .offset:         48
        .size:           3
        .value_kind:     by_value
      - .offset:         56
        .size:           4
        .value_kind:     hidden_block_count_x
      - .offset:         60
        .size:           4
        .value_kind:     hidden_block_count_y
      - .offset:         64
        .size:           4
        .value_kind:     hidden_block_count_z
      - .offset:         68
        .size:           2
        .value_kind:     hidden_group_size_x
      - .offset:         70
        .size:           2
        .value_kind:     hidden_group_size_y
      - .offset:         72
        .size:           2
        .value_kind:     hidden_group_size_z
      - .offset:         74
        .size:           2
        .value_kind:     hidden_remainder_x
      - .offset:         76
        .size:           2
        .value_kind:     hidden_remainder_y
      - .offset:         78
        .size:           2
        .value_kind:     hidden_remainder_z
      - .offset:         96
        .size:           8
        .value_kind:     hidden_global_offset_x
      - .offset:         104
        .size:           8
        .value_kind:     hidden_global_offset_y
      - .offset:         112
        .size:           8
        .value_kind:     hidden_global_offset_z
      - .offset:         120
        .size:           2
        .value_kind:     hidden_grid_dims
    .group_segment_fixed_size: 0
    .kernarg_segment_align: 8
    .kernarg_segment_size: 312
    .language:       OpenCL C
    .language_version:
      - 2
      - 0
    .max_flat_workgroup_size: 128
    .name:           _Z13topk_moe_cudaILi576ELb0EEvPKfPfPiS2_iiff15topk_moe_config
    .private_segment_fixed_size: 160
    .sgpr_count:     54
    .sgpr_spill_count: 0
    .symbol:         _Z13topk_moe_cudaILi576ELb0EEvPKfPfPiS2_iiff15topk_moe_config.kd
    .uniform_work_group_size: 1
    .uses_dynamic_stack: false
    .vgpr_count:     84
    .vgpr_spill_count: 0
    .wavefront_size: 64
amdhsa.target:   amdgcn-amd-amdhsa--gfx90a
amdhsa.version:
  - 1
  - 2
...

	.end_amdgpu_metadata
